;; amdgpu-corpus repo=ROCm/rocFFT kind=compiled arch=gfx1100 opt=O3
	.text
	.amdgcn_target "amdgcn-amd-amdhsa--gfx1100"
	.amdhsa_code_object_version 6
	.protected	fft_rtc_fwd_len121_factors_11_11_wgs_121_tpt_11_dp_op_CI_CI_sbcc_twdbase8_3step_dirReg_intrinsicRead ; -- Begin function fft_rtc_fwd_len121_factors_11_11_wgs_121_tpt_11_dp_op_CI_CI_sbcc_twdbase8_3step_dirReg_intrinsicRead
	.globl	fft_rtc_fwd_len121_factors_11_11_wgs_121_tpt_11_dp_op_CI_CI_sbcc_twdbase8_3step_dirReg_intrinsicRead
	.p2align	8
	.type	fft_rtc_fwd_len121_factors_11_11_wgs_121_tpt_11_dp_op_CI_CI_sbcc_twdbase8_3step_dirReg_intrinsicRead,@function
fft_rtc_fwd_len121_factors_11_11_wgs_121_tpt_11_dp_op_CI_CI_sbcc_twdbase8_3step_dirReg_intrinsicRead: ; @fft_rtc_fwd_len121_factors_11_11_wgs_121_tpt_11_dp_op_CI_CI_sbcc_twdbase8_3step_dirReg_intrinsicRead
; %bb.0:
	s_clause 0x1
	s_load_b128 s[16:19], s[0:1], 0x18
	s_load_b64 s[26:27], s[0:1], 0x28
	s_mov_b32 s28, s15
	s_mov_b32 s29, 0
	s_mov_b64 s[22:23], 0
	s_waitcnt lgkmcnt(0)
	s_load_b64 s[24:25], s[16:17], 0x8
	s_waitcnt lgkmcnt(0)
	s_add_u32 s2, s24, -1
	s_addc_u32 s3, s25, -1
	s_add_u32 s4, 0, 0x5d161400
	s_addc_u32 s5, 0, 0x54
	s_mul_hi_u32 s7, s4, -11
	s_add_i32 s5, s5, 0x1745d120
	s_sub_i32 s7, s7, s4
	s_mul_i32 s9, s5, -11
	s_mul_i32 s6, s4, -11
	s_add_i32 s7, s7, s9
	s_mul_hi_u32 s8, s4, s6
	s_mul_i32 s11, s4, s7
	s_mul_hi_u32 s9, s4, s7
	s_mul_hi_u32 s10, s5, s6
	s_mul_i32 s6, s5, s6
	s_add_u32 s8, s8, s11
	s_addc_u32 s9, 0, s9
	s_mul_hi_u32 s12, s5, s7
	s_add_u32 s6, s8, s6
	s_mul_i32 s7, s5, s7
	s_addc_u32 s6, s9, s10
	s_addc_u32 s8, s12, 0
	s_add_u32 s6, s6, s7
	s_delay_alu instid0(SALU_CYCLE_1) | instskip(SKIP_3) | instid1(VALU_DEP_1)
	v_add_co_u32 v1, s4, s4, s6
	s_addc_u32 s6, 0, s8
	s_cmp_lg_u32 s4, 0
	s_addc_u32 s4, s5, s6
	v_readfirstlane_b32 s5, v1
	s_mul_i32 s7, s2, s4
	s_mul_hi_u32 s6, s2, s4
	s_mul_hi_u32 s8, s3, s4
	s_mul_i32 s4, s3, s4
	s_mul_hi_u32 s9, s2, s5
	s_mul_hi_u32 s10, s3, s5
	s_mul_i32 s5, s3, s5
	s_add_u32 s7, s9, s7
	s_addc_u32 s6, 0, s6
	s_add_u32 s5, s7, s5
	s_addc_u32 s5, s6, s10
	s_addc_u32 s6, s8, 0
	s_add_u32 s4, s5, s4
	s_addc_u32 s5, 0, s6
	s_mul_i32 s7, s4, 11
	s_add_u32 s6, s4, 1
	v_sub_co_u32 v1, s2, s2, s7
	s_mul_hi_u32 s7, s4, 11
	s_addc_u32 s8, s5, 0
	s_mul_i32 s9, s5, 11
	s_delay_alu instid0(VALU_DEP_1)
	v_sub_co_u32 v2, s10, v1, 11
	s_add_u32 s11, s4, 2
	s_addc_u32 s12, s5, 0
	s_add_i32 s7, s7, s9
	s_cmp_lg_u32 s2, 0
	v_readfirstlane_b32 s2, v2
	s_subb_u32 s3, s3, s7
	s_cmp_lg_u32 s10, 0
	s_subb_u32 s7, s3, 0
	s_delay_alu instid0(VALU_DEP_1) | instskip(SKIP_4) | instid1(SALU_CYCLE_1)
	s_cmp_gt_u32 s2, 10
	s_cselect_b32 s2, -1, 0
	s_cmp_eq_u32 s7, 0
	v_readfirstlane_b32 s7, v1
	s_cselect_b32 s2, s2, -1
	s_cmp_lg_u32 s2, 0
	s_cselect_b32 s2, s11, s6
	s_cselect_b32 s6, s12, s8
	s_cmp_gt_u32 s7, 10
	s_cselect_b32 s7, -1, 0
	s_cmp_eq_u32 s3, 0
	s_cselect_b32 s3, s7, -1
	s_delay_alu instid0(SALU_CYCLE_1) | instskip(SKIP_4) | instid1(SALU_CYCLE_1)
	s_cmp_lg_u32 s3, 0
	s_cselect_b32 s2, s2, s4
	s_cselect_b32 s3, s6, s5
	s_add_u32 s30, s2, 1
	s_addc_u32 s31, s3, 0
	v_cmp_lt_u64_e64 s2, s[28:29], s[30:31]
	s_delay_alu instid0(VALU_DEP_1)
	s_and_b32 vcc_lo, exec_lo, s2
	s_cbranch_vccnz .LBB0_2
; %bb.1:
	v_cvt_f32_u32_e32 v1, s30
	s_sub_i32 s3, 0, s30
	s_mov_b32 s23, s29
	s_delay_alu instid0(VALU_DEP_1) | instskip(SKIP_2) | instid1(VALU_DEP_1)
	v_rcp_iflag_f32_e32 v1, v1
	s_waitcnt_depctr 0xfff
	v_mul_f32_e32 v1, 0x4f7ffffe, v1
	v_cvt_u32_f32_e32 v1, v1
	s_delay_alu instid0(VALU_DEP_1) | instskip(NEXT) | instid1(VALU_DEP_1)
	v_readfirstlane_b32 s2, v1
	s_mul_i32 s3, s3, s2
	s_delay_alu instid0(SALU_CYCLE_1) | instskip(NEXT) | instid1(SALU_CYCLE_1)
	s_mul_hi_u32 s3, s2, s3
	s_add_i32 s2, s2, s3
	s_delay_alu instid0(SALU_CYCLE_1) | instskip(NEXT) | instid1(SALU_CYCLE_1)
	s_mul_hi_u32 s2, s28, s2
	s_mul_i32 s3, s2, s30
	s_add_i32 s4, s2, 1
	s_sub_i32 s3, s28, s3
	s_delay_alu instid0(SALU_CYCLE_1)
	s_sub_i32 s5, s3, s30
	s_cmp_ge_u32 s3, s30
	s_cselect_b32 s2, s4, s2
	s_cselect_b32 s3, s5, s3
	s_add_i32 s4, s2, 1
	s_cmp_ge_u32 s3, s30
	s_cselect_b32 s22, s4, s2
.LBB0_2:
	s_load_b128 s[12:15], s[18:19], 0x0
	s_load_b128 s[4:7], s[26:27], 0x0
	s_clause 0x1
	s_load_b128 s[8:11], s[0:1], 0x8
	s_load_b64 s[44:45], s[0:1], 0x0
	s_mul_i32 s2, s22, s31
	s_mul_hi_u32 s3, s22, s30
	s_waitcnt lgkmcnt(0)
	s_mul_i32 s13, s22, s30
	s_add_i32 s3, s3, s2
	s_sub_u32 s33, s28, s13
	s_subb_u32 s2, 0, s3
	s_mul_hi_u32 s13, s33, 11
	s_mul_i32 s20, s2, 11
	s_load_b128 s[0:3], s[0:1], 0x60
	s_add_i32 s13, s13, s20
	s_mul_i32 s33, s33, 11
	s_mul_i32 s20, s14, s13
	s_mul_hi_u32 s21, s14, s33
	v_cmp_lt_u64_e64 s38, s[10:11], 3
	s_mul_i32 s35, s6, s13
	s_mul_hi_u32 s36, s6, s33
	s_mul_i32 s34, s15, s33
	s_mul_i32 s37, s7, s33
	s_add_i32 s20, s21, s20
	s_add_i32 s21, s36, s35
	;; [unrolled: 1-line block ×3, first 2 shown]
	s_mul_i32 s48, s14, s33
	s_add_i32 s21, s21, s37
	s_and_b32 vcc_lo, exec_lo, s38
	s_mul_i32 s20, s6, s33
	s_cbranch_vccnz .LBB0_12
; %bb.3:
	s_add_u32 s34, s26, 16
	s_addc_u32 s35, s27, 0
	s_add_u32 s36, s18, 16
	s_addc_u32 s37, s19, 0
	;; [unrolled: 2-line block ×3, first 2 shown]
	s_mov_b64 s[38:39], 2
	s_mov_b32 s40, 0
.LBB0_4:                                ; =>This Inner Loop Header: Depth=1
	s_load_b64 s[42:43], s[16:17], 0x0
	s_waitcnt lgkmcnt(0)
	s_or_b64 s[46:47], s[22:23], s[42:43]
	s_delay_alu instid0(SALU_CYCLE_1) | instskip(NEXT) | instid1(SALU_CYCLE_1)
	s_mov_b32 s41, s47
                                        ; implicit-def: $sgpr46_sgpr47
	s_cmp_lg_u64 s[40:41], 0
	s_mov_b32 s41, -1
	s_cbranch_scc0 .LBB0_6
; %bb.5:                                ;   in Loop: Header=BB0_4 Depth=1
	v_cvt_f32_u32_e32 v1, s42
	v_cvt_f32_u32_e32 v2, s43
	s_sub_u32 s47, 0, s42
	s_subb_u32 s50, 0, s43
	s_delay_alu instid0(VALU_DEP_1) | instskip(NEXT) | instid1(VALU_DEP_1)
	v_fmac_f32_e32 v1, 0x4f800000, v2
	v_rcp_f32_e32 v1, v1
	s_waitcnt_depctr 0xfff
	v_mul_f32_e32 v1, 0x5f7ffffc, v1
	s_delay_alu instid0(VALU_DEP_1) | instskip(NEXT) | instid1(VALU_DEP_1)
	v_mul_f32_e32 v2, 0x2f800000, v1
	v_trunc_f32_e32 v2, v2
	s_delay_alu instid0(VALU_DEP_1) | instskip(SKIP_1) | instid1(VALU_DEP_2)
	v_fmac_f32_e32 v1, 0xcf800000, v2
	v_cvt_u32_f32_e32 v2, v2
	v_cvt_u32_f32_e32 v1, v1
	s_delay_alu instid0(VALU_DEP_2) | instskip(NEXT) | instid1(VALU_DEP_2)
	v_readfirstlane_b32 s41, v2
	v_readfirstlane_b32 s46, v1
	s_delay_alu instid0(VALU_DEP_2) | instskip(NEXT) | instid1(VALU_DEP_1)
	s_mul_i32 s51, s47, s41
	s_mul_hi_u32 s53, s47, s46
	s_mul_i32 s52, s50, s46
	s_add_i32 s51, s53, s51
	s_mul_i32 s54, s47, s46
	s_add_i32 s51, s51, s52
	s_mul_hi_u32 s53, s46, s54
	s_mul_hi_u32 s55, s41, s54
	s_mul_i32 s52, s41, s54
	s_mul_hi_u32 s54, s46, s51
	s_mul_i32 s46, s46, s51
	s_mul_hi_u32 s56, s41, s51
	s_add_u32 s46, s53, s46
	s_addc_u32 s53, 0, s54
	s_add_u32 s46, s46, s52
	s_mul_i32 s51, s41, s51
	s_addc_u32 s46, s53, s55
	s_addc_u32 s52, s56, 0
	s_add_u32 s46, s46, s51
	s_addc_u32 s51, 0, s52
	v_add_co_u32 v1, s46, v1, s46
	s_delay_alu instid0(VALU_DEP_1) | instskip(SKIP_1) | instid1(VALU_DEP_1)
	s_cmp_lg_u32 s46, 0
	s_addc_u32 s41, s41, s51
	v_readfirstlane_b32 s46, v1
	s_mul_i32 s51, s47, s41
	s_delay_alu instid0(VALU_DEP_1)
	s_mul_hi_u32 s52, s47, s46
	s_mul_i32 s50, s50, s46
	s_add_i32 s51, s52, s51
	s_mul_i32 s47, s47, s46
	s_add_i32 s51, s51, s50
	s_mul_hi_u32 s52, s41, s47
	s_mul_i32 s53, s41, s47
	s_mul_hi_u32 s47, s46, s47
	s_mul_hi_u32 s54, s46, s51
	s_mul_i32 s46, s46, s51
	s_mul_hi_u32 s50, s41, s51
	s_add_u32 s46, s47, s46
	s_addc_u32 s47, 0, s54
	s_add_u32 s46, s46, s53
	s_mul_i32 s51, s41, s51
	s_addc_u32 s46, s47, s52
	s_addc_u32 s47, s50, 0
	s_add_u32 s46, s46, s51
	s_addc_u32 s47, 0, s47
	v_add_co_u32 v1, s46, v1, s46
	s_delay_alu instid0(VALU_DEP_1) | instskip(SKIP_1) | instid1(VALU_DEP_1)
	s_cmp_lg_u32 s46, 0
	s_addc_u32 s41, s41, s47
	v_readfirstlane_b32 s46, v1
	s_mul_i32 s50, s22, s41
	s_mul_hi_u32 s47, s22, s41
	s_mul_hi_u32 s51, s23, s41
	s_mul_i32 s41, s23, s41
	s_mul_hi_u32 s52, s22, s46
	s_mul_hi_u32 s53, s23, s46
	s_mul_i32 s46, s23, s46
	s_add_u32 s50, s52, s50
	s_addc_u32 s47, 0, s47
	s_add_u32 s46, s50, s46
	s_addc_u32 s46, s47, s53
	s_addc_u32 s47, s51, 0
	s_add_u32 s46, s46, s41
	s_addc_u32 s47, 0, s47
	s_mul_hi_u32 s41, s42, s46
	s_mul_i32 s51, s42, s47
	s_mul_i32 s52, s42, s46
	s_add_i32 s41, s41, s51
	v_sub_co_u32 v1, s51, s22, s52
	s_mul_i32 s50, s43, s46
	s_delay_alu instid0(SALU_CYCLE_1) | instskip(NEXT) | instid1(VALU_DEP_1)
	s_add_i32 s41, s41, s50
	v_sub_co_u32 v2, s52, v1, s42
	s_sub_i32 s50, s23, s41
	s_cmp_lg_u32 s51, 0
	s_subb_u32 s50, s50, s43
	s_cmp_lg_u32 s52, 0
	v_readfirstlane_b32 s52, v2
	s_subb_u32 s50, s50, 0
	s_delay_alu instid0(SALU_CYCLE_1) | instskip(SKIP_1) | instid1(VALU_DEP_1)
	s_cmp_ge_u32 s50, s43
	s_cselect_b32 s53, -1, 0
	s_cmp_ge_u32 s52, s42
	s_cselect_b32 s52, -1, 0
	s_cmp_eq_u32 s50, s43
	s_cselect_b32 s50, s52, s53
	s_add_u32 s52, s46, 1
	s_addc_u32 s53, s47, 0
	s_add_u32 s54, s46, 2
	s_addc_u32 s55, s47, 0
	s_cmp_lg_u32 s50, 0
	s_cselect_b32 s50, s54, s52
	s_cselect_b32 s52, s55, s53
	s_cmp_lg_u32 s51, 0
	v_readfirstlane_b32 s51, v1
	s_subb_u32 s41, s23, s41
	s_delay_alu instid0(SALU_CYCLE_1) | instskip(SKIP_1) | instid1(VALU_DEP_1)
	s_cmp_ge_u32 s41, s43
	s_cselect_b32 s53, -1, 0
	s_cmp_ge_u32 s51, s42
	s_cselect_b32 s51, -1, 0
	s_cmp_eq_u32 s41, s43
	s_cselect_b32 s41, s51, s53
	s_delay_alu instid0(SALU_CYCLE_1)
	s_cmp_lg_u32 s41, 0
	s_mov_b32 s41, 0
	s_cselect_b32 s47, s52, s47
	s_cselect_b32 s46, s50, s46
.LBB0_6:                                ;   in Loop: Header=BB0_4 Depth=1
	s_and_not1_b32 vcc_lo, exec_lo, s41
	s_cbranch_vccnz .LBB0_8
; %bb.7:                                ;   in Loop: Header=BB0_4 Depth=1
	v_cvt_f32_u32_e32 v1, s42
	s_sub_i32 s46, 0, s42
	s_waitcnt_depctr 0xfff
	v_rcp_iflag_f32_e32 v1, v1
	s_waitcnt_depctr 0xfff
	v_mul_f32_e32 v1, 0x4f7ffffe, v1
	s_delay_alu instid0(VALU_DEP_1) | instskip(NEXT) | instid1(VALU_DEP_1)
	v_cvt_u32_f32_e32 v1, v1
	v_readfirstlane_b32 s41, v1
	s_delay_alu instid0(VALU_DEP_1) | instskip(NEXT) | instid1(SALU_CYCLE_1)
	s_mul_i32 s46, s46, s41
	s_mul_hi_u32 s46, s41, s46
	s_delay_alu instid0(SALU_CYCLE_1) | instskip(NEXT) | instid1(SALU_CYCLE_1)
	s_add_i32 s41, s41, s46
	s_mul_hi_u32 s41, s22, s41
	s_delay_alu instid0(SALU_CYCLE_1) | instskip(SKIP_2) | instid1(SALU_CYCLE_1)
	s_mul_i32 s46, s41, s42
	s_add_i32 s47, s41, 1
	s_sub_i32 s46, s22, s46
	s_sub_i32 s50, s46, s42
	s_cmp_ge_u32 s46, s42
	s_cselect_b32 s41, s47, s41
	s_cselect_b32 s46, s50, s46
	s_add_i32 s47, s41, 1
	s_cmp_ge_u32 s46, s42
	s_cselect_b32 s46, s47, s41
	s_mov_b32 s47, s40
.LBB0_8:                                ;   in Loop: Header=BB0_4 Depth=1
	s_load_b64 s[50:51], s[36:37], 0x0
	s_load_b64 s[52:53], s[34:35], 0x0
	s_mul_i32 s31, s42, s31
	s_mul_hi_u32 s41, s42, s30
	s_mul_i32 s54, s43, s30
	s_mul_i32 s43, s46, s43
	s_mul_hi_u32 s55, s46, s42
	s_mul_i32 s56, s47, s42
	s_add_i32 s31, s41, s31
	s_add_i32 s41, s55, s43
	s_mul_i32 s57, s46, s42
	s_add_i32 s31, s31, s54
	s_add_i32 s41, s41, s56
	s_sub_u32 s22, s22, s57
	s_subb_u32 s23, s23, s41
	s_mul_i32 s30, s42, s30
	s_waitcnt lgkmcnt(0)
	s_mul_i32 s41, s50, s23
	s_mul_hi_u32 s43, s50, s22
	s_mul_i32 s51, s51, s22
	s_add_i32 s41, s43, s41
	s_mul_i32 s50, s50, s22
	s_mul_i32 s23, s52, s23
	s_mul_hi_u32 s43, s52, s22
	s_add_i32 s41, s41, s51
	s_add_u32 s48, s50, s48
	s_addc_u32 s49, s41, s49
	s_add_i32 s23, s43, s23
	s_mul_i32 s41, s53, s22
	s_mul_i32 s22, s52, s22
	s_add_i32 s23, s23, s41
	s_add_u32 s20, s22, s20
	s_addc_u32 s21, s23, s21
	s_add_u32 s38, s38, 1
	s_addc_u32 s39, s39, 0
	s_add_u32 s34, s34, 8
	v_cmp_ge_u64_e64 s22, s[38:39], s[10:11]
	s_addc_u32 s35, s35, 0
	s_add_u32 s36, s36, 8
	s_addc_u32 s37, s37, 0
	s_add_u32 s16, s16, 8
	s_addc_u32 s17, s17, 0
	s_and_b32 vcc_lo, exec_lo, s22
	s_cbranch_vccnz .LBB0_10
; %bb.9:                                ;   in Loop: Header=BB0_4 Depth=1
	s_mov_b64 s[22:23], s[46:47]
	s_branch .LBB0_4
.LBB0_10:
	v_cmp_lt_u64_e64 s16, s[28:29], s[30:31]
	s_mov_b64 s[22:23], 0
	s_delay_alu instid0(VALU_DEP_1)
	s_and_b32 vcc_lo, exec_lo, s16
	s_cbranch_vccnz .LBB0_12
; %bb.11:
	v_cvt_f32_u32_e32 v1, s30
	s_sub_i32 s17, 0, s30
	s_delay_alu instid0(VALU_DEP_1) | instskip(SKIP_2) | instid1(VALU_DEP_1)
	v_rcp_iflag_f32_e32 v1, v1
	s_waitcnt_depctr 0xfff
	v_mul_f32_e32 v1, 0x4f7ffffe, v1
	v_cvt_u32_f32_e32 v1, v1
	s_delay_alu instid0(VALU_DEP_1) | instskip(NEXT) | instid1(VALU_DEP_1)
	v_readfirstlane_b32 s16, v1
	s_mul_i32 s17, s17, s16
	s_delay_alu instid0(SALU_CYCLE_1) | instskip(NEXT) | instid1(SALU_CYCLE_1)
	s_mul_hi_u32 s17, s16, s17
	s_add_i32 s16, s16, s17
	s_delay_alu instid0(SALU_CYCLE_1) | instskip(NEXT) | instid1(SALU_CYCLE_1)
	s_mul_hi_u32 s16, s28, s16
	s_mul_i32 s17, s16, s30
	s_add_i32 s22, s16, 1
	s_sub_i32 s17, s28, s17
	s_delay_alu instid0(SALU_CYCLE_1)
	s_sub_i32 s23, s17, s30
	s_cmp_ge_u32 s17, s30
	s_cselect_b32 s16, s22, s16
	s_cselect_b32 s17, s23, s17
	s_add_i32 s22, s16, 1
	s_cmp_ge_u32 s17, s30
	s_cselect_b32 s22, s22, s16
.LBB0_12:
	v_mul_u32_u24_e32 v1, 0x1746, v0
	s_lshl_b64 s[16:17], s[10:11], 3
	v_mov_b32_e32 v43, 0
	s_add_u32 s10, s18, s16
	s_addc_u32 s11, s19, s17
	v_lshrrev_b32_e32 v49, 16, v1
	s_load_b64 s[10:11], s[10:11], 0x0
	v_mov_b32_e32 v44, 0
	s_delay_alu instid0(VALU_DEP_2) | instskip(NEXT) | instid1(VALU_DEP_1)
	v_mul_lo_u16 v1, v49, 11
	v_sub_nc_u16 v1, v0, v1
	s_delay_alu instid0(VALU_DEP_1) | instskip(NEXT) | instid1(VALU_DEP_1)
	v_and_b32_e32 v52, 0xffff, v1
	v_mad_u64_u32 v[47:48], null, s14, v52, 0
	s_waitcnt lgkmcnt(0)
	s_mul_i32 s10, s10, s22
	s_delay_alu instid0(SALU_CYCLE_1) | instskip(SKIP_3) | instid1(VALU_DEP_1)
	s_add_u32 s10, s10, s48
	s_add_u32 s46, s26, s16
	s_addc_u32 s47, s27, s17
	s_add_u32 s16, s33, 11
	v_mov_b32_e32 v1, v48
	v_add_co_u32 v45, s11, s33, v52
	s_delay_alu instid0(VALU_DEP_1) | instskip(SKIP_1) | instid1(VALU_DEP_3)
	v_add_co_ci_u32_e64 v46, null, s13, 0, s11
	s_addc_u32 s17, s13, 0
	v_mad_u64_u32 v[2:3], null, s15, v52, v[1:2]
	v_cmp_le_u64_e64 s11, s[16:17], s[24:25]
	s_delay_alu instid0(VALU_DEP_3) | instskip(SKIP_2) | instid1(VALU_DEP_4)
	v_cmp_gt_u64_e32 vcc_lo, s[24:25], v[45:46]
	v_dual_mov_b32 v3, v43 :: v_dual_mov_b32 v4, v44
	v_dual_mov_b32 v1, v43 :: v_dual_mov_b32 v2, v44
	s_or_b32 s23, s11, vcc_lo
	s_delay_alu instid0(SALU_CYCLE_1)
	s_and_saveexec_b32 s11, s23
	s_cbranch_execz .LBB0_14
; %bb.13:
	v_mul_lo_u32 v1, s12, v49
	v_mov_b32_e32 v2, 0
	s_delay_alu instid0(VALU_DEP_2) | instskip(NEXT) | instid1(VALU_DEP_1)
	v_add3_u32 v1, s10, v47, v1
	v_lshlrev_b64 v[1:2], 4, v[1:2]
	s_delay_alu instid0(VALU_DEP_1) | instskip(NEXT) | instid1(VALU_DEP_2)
	v_add_co_u32 v1, vcc_lo, s0, v1
	v_add_co_ci_u32_e32 v2, vcc_lo, s1, v2, vcc_lo
	global_load_b128 v[1:4], v[1:2], off
.LBB0_14:
	s_or_b32 exec_lo, exec_lo, s11
	v_dual_mov_b32 v41, v43 :: v_dual_mov_b32 v42, v44
	s_and_saveexec_b32 s11, s23
	s_cbranch_execz .LBB0_16
; %bb.15:
	v_dual_mov_b32 v6, 0 :: v_dual_add_nc_u32 v5, 11, v49
	s_delay_alu instid0(VALU_DEP_1) | instskip(NEXT) | instid1(VALU_DEP_1)
	v_mul_lo_u32 v5, s12, v5
	v_add3_u32 v5, s10, v47, v5
	s_delay_alu instid0(VALU_DEP_1) | instskip(NEXT) | instid1(VALU_DEP_1)
	v_lshlrev_b64 v[5:6], 4, v[5:6]
	v_add_co_u32 v5, vcc_lo, s0, v5
	s_delay_alu instid0(VALU_DEP_2)
	v_add_co_ci_u32_e32 v6, vcc_lo, s1, v6, vcc_lo
	global_load_b128 v[41:44], v[5:6], off
.LBB0_16:
	s_or_b32 exec_lo, exec_lo, s11
	v_mov_b32_e32 v35, 0
	v_mov_b32_e32 v36, 0
	s_delay_alu instid0(VALU_DEP_1)
	v_dual_mov_b32 v40, v36 :: v_dual_mov_b32 v39, v35
	v_dual_mov_b32 v38, v36 :: v_dual_mov_b32 v37, v35
	s_and_saveexec_b32 s11, s23
	s_cbranch_execz .LBB0_18
; %bb.17:
	v_dual_mov_b32 v6, 0 :: v_dual_add_nc_u32 v5, 22, v49
	s_delay_alu instid0(VALU_DEP_1) | instskip(NEXT) | instid1(VALU_DEP_1)
	v_mul_lo_u32 v5, s12, v5
	v_add3_u32 v5, s10, v47, v5
	s_delay_alu instid0(VALU_DEP_1) | instskip(NEXT) | instid1(VALU_DEP_1)
	v_lshlrev_b64 v[5:6], 4, v[5:6]
	v_add_co_u32 v5, vcc_lo, s0, v5
	s_delay_alu instid0(VALU_DEP_2)
	v_add_co_ci_u32_e32 v6, vcc_lo, s1, v6, vcc_lo
	global_load_b128 v[37:40], v[5:6], off
.LBB0_18:
	s_or_b32 exec_lo, exec_lo, s11
	v_dual_mov_b32 v33, v35 :: v_dual_mov_b32 v34, v36
	s_and_saveexec_b32 s11, s23
	s_cbranch_execz .LBB0_20
; %bb.19:
	v_dual_mov_b32 v6, 0 :: v_dual_add_nc_u32 v5, 33, v49
	s_delay_alu instid0(VALU_DEP_1) | instskip(NEXT) | instid1(VALU_DEP_1)
	v_mul_lo_u32 v5, s12, v5
	v_add3_u32 v5, s10, v47, v5
	s_delay_alu instid0(VALU_DEP_1) | instskip(NEXT) | instid1(VALU_DEP_1)
	v_lshlrev_b64 v[5:6], 4, v[5:6]
	v_add_co_u32 v5, vcc_lo, s0, v5
	s_delay_alu instid0(VALU_DEP_2)
	v_add_co_ci_u32_e32 v6, vcc_lo, s1, v6, vcc_lo
	global_load_b128 v[33:36], v[5:6], off
.LBB0_20:
	s_or_b32 exec_lo, exec_lo, s11
	v_mov_b32_e32 v15, 0
	v_mov_b32_e32 v16, 0
	s_delay_alu instid0(VALU_DEP_1)
	v_dual_mov_b32 v28, v16 :: v_dual_mov_b32 v27, v15
	v_dual_mov_b32 v26, v16 :: v_dual_mov_b32 v25, v15
	s_and_saveexec_b32 s11, s23
	s_cbranch_execz .LBB0_22
; %bb.21:
	v_dual_mov_b32 v6, 0 :: v_dual_add_nc_u32 v5, 44, v49
	s_delay_alu instid0(VALU_DEP_1) | instskip(NEXT) | instid1(VALU_DEP_1)
	v_mul_lo_u32 v5, s12, v5
	v_add3_u32 v5, s10, v47, v5
	s_delay_alu instid0(VALU_DEP_1) | instskip(NEXT) | instid1(VALU_DEP_1)
	v_lshlrev_b64 v[5:6], 4, v[5:6]
	v_add_co_u32 v5, vcc_lo, s0, v5
	s_delay_alu instid0(VALU_DEP_2)
	v_add_co_ci_u32_e32 v6, vcc_lo, s1, v6, vcc_lo
	global_load_b128 v[25:28], v[5:6], off
.LBB0_22:
	;; [unrolled: 36-line block ×4, first 2 shown]
	s_or_b32 exec_lo, exec_lo, s11
	v_dual_mov_b32 v5, v7 :: v_dual_mov_b32 v6, v8
	s_and_saveexec_b32 s11, s23
	s_cbranch_execz .LBB0_32
; %bb.31:
	v_dual_mov_b32 v6, 0 :: v_dual_add_nc_u32 v5, 0x63, v49
	s_delay_alu instid0(VALU_DEP_1) | instskip(NEXT) | instid1(VALU_DEP_1)
	v_mul_lo_u32 v5, s12, v5
	v_add3_u32 v5, s10, v47, v5
	s_delay_alu instid0(VALU_DEP_1) | instskip(NEXT) | instid1(VALU_DEP_1)
	v_lshlrev_b64 v[5:6], 4, v[5:6]
	v_add_co_u32 v5, vcc_lo, s0, v5
	s_delay_alu instid0(VALU_DEP_2)
	v_add_co_ci_u32_e32 v6, vcc_lo, s1, v6, vcc_lo
	global_load_b128 v[5:8], v[5:6], off
.LBB0_32:
	s_or_b32 exec_lo, exec_lo, s11
	v_mov_b32_e32 v31, 0
	v_mov_b32_e32 v32, 0
	s_delay_alu instid0(VALU_DEP_1)
	v_dual_mov_b32 v29, v31 :: v_dual_mov_b32 v30, v32
	s_and_saveexec_b32 s11, s23
	s_cbranch_execz .LBB0_34
; %bb.33:
	v_dual_mov_b32 v30, 0 :: v_dual_add_nc_u32 v29, 0x6e, v49
	s_delay_alu instid0(VALU_DEP_1) | instskip(NEXT) | instid1(VALU_DEP_1)
	v_mul_lo_u32 v29, s12, v29
	v_add3_u32 v29, s10, v47, v29
	s_delay_alu instid0(VALU_DEP_1) | instskip(NEXT) | instid1(VALU_DEP_1)
	v_lshlrev_b64 v[29:30], 4, v[29:30]
	v_add_co_u32 v29, vcc_lo, s0, v29
	s_delay_alu instid0(VALU_DEP_2)
	v_add_co_ci_u32_e32 v30, vcc_lo, s1, v30, vcc_lo
	global_load_b128 v[29:32], v[29:30], off
.LBB0_34:
	s_or_b32 exec_lo, exec_lo, s11
	s_waitcnt vmcnt(0)
	v_add_f64 v[46:47], v[1:2], v[41:42]
	v_add_f64 v[50:51], v[3:4], v[43:44]
	;; [unrolled: 1-line block ×3, first 2 shown]
	v_add_f64 v[55:56], v[41:42], -v[29:30]
	v_add_f64 v[59:60], v[33:34], v[17:18]
	v_add_f64 v[61:62], v[35:36], v[19:20]
	v_add_f64 v[63:64], v[33:34], -v[17:18]
	v_add_f64 v[65:66], v[35:36], -v[19:20]
	s_mov_b32 s0, 0x8764f0ba
	s_mov_b32 s12, 0xf8bb580b
	;; [unrolled: 1-line block ×20, first 2 shown]
	v_add_f64 v[41:42], v[43:44], v[31:32]
	v_add_f64 v[43:44], v[43:44], -v[31:32]
	s_mov_b32 s29, 0xbfe4f49e
	s_mov_b32 s35, 0x3fe82f19
	;; [unrolled: 1-line block ×3, first 2 shown]
	v_add_f64 v[57:58], v[37:38], v[5:6]
	s_mov_b32 s38, 0x9bcd5057
	s_mov_b32 s42, 0xfd768dbf
	v_add_f64 v[79:80], v[13:14], -v[21:22]
	s_mov_b32 s36, s34
	v_add_f64 v[46:47], v[46:47], v[37:38]
	v_add_f64 v[50:51], v[50:51], v[39:40]
	v_add_f64 v[37:38], v[37:38], -v[5:6]
	v_mul_f64 v[85:86], v[53:54], s[0:1]
	v_mul_f64 v[87:88], v[55:56], s[10:11]
	;; [unrolled: 1-line block ×4, first 2 shown]
	s_mov_b32 s39, 0xbfeeb42a
	s_mov_b32 s43, 0x3fd207e7
	;; [unrolled: 1-line block ×4, first 2 shown]
	v_mul_f64 v[93:94], v[53:54], s[18:19]
	v_mul_f64 v[95:96], v[55:56], s[24:25]
	;; [unrolled: 1-line block ×6, first 2 shown]
	v_add_f64 v[67:68], v[25:26], v[9:10]
	v_add_f64 v[69:70], v[27:28], v[11:12]
	v_add_f64 v[71:72], v[25:26], -v[9:10]
	v_add_f64 v[73:74], v[27:28], -v[11:12]
	v_add_f64 v[83:84], v[39:40], v[7:8]
	v_add_f64 v[39:40], v[39:40], -v[7:8]
	v_add_f64 v[75:76], v[13:14], v[21:22]
	v_add_f64 v[77:78], v[15:16], v[23:24]
	v_add_f64 v[81:82], v[15:16], -v[23:24]
	v_mul_f64 v[113:114], v[59:60], s[18:19]
	v_mul_f64 v[115:116], v[59:60], s[38:39]
	;; [unrolled: 1-line block ×12, first 2 shown]
	v_add_f64 v[33:34], v[46:47], v[33:34]
	v_add_f64 v[35:36], v[50:51], v[35:36]
	v_mul_f64 v[46:47], v[57:58], s[18:19]
	v_mul_f64 v[50:51], v[57:58], s[0:1]
	;; [unrolled: 1-line block ×6, first 2 shown]
	v_fma_f64 v[161:162], v[43:44], s[16:17], v[89:90]
	v_fma_f64 v[163:164], v[41:42], s[14:15], v[91:92]
	v_mul_f64 v[109:110], v[37:38], s[42:43]
	v_fma_f64 v[89:90], v[43:44], s[26:27], v[89:90]
	v_fma_f64 v[165:166], v[43:44], s[30:31], v[93:94]
	v_fma_f64 v[167:168], v[41:42], s[18:19], v[95:96]
	v_mul_f64 v[111:112], v[37:38], s[30:31]
	v_fma_f64 v[93:94], v[43:44], s[24:25], v[93:94]
	;; [unrolled: 4-line block ×3, first 2 shown]
	v_fma_f64 v[173:174], v[43:44], s[42:43], v[53:54]
	v_fma_f64 v[91:92], v[41:42], s[14:15], -v[91:92]
	v_fma_f64 v[95:96], v[41:42], s[18:19], -v[95:96]
	;; [unrolled: 1-line block ×3, first 2 shown]
	v_mul_f64 v[59:60], v[59:60], s[28:29]
	v_mul_f64 v[121:122], v[63:64], s[24:25]
	;; [unrolled: 1-line block ×9, first 2 shown]
	v_fma_f64 v[187:188], v[65:66], s[40:41], v[115:116]
	v_fma_f64 v[175:176], v[39:40], s[34:35], v[103:104]
	v_fma_f64 v[103:104], v[39:40], s[36:37], v[103:104]
	v_fma_f64 v[177:178], v[39:40], s[40:41], v[105:106]
	v_fma_f64 v[105:106], v[39:40], s[42:43], v[105:106]
	v_add_f64 v[25:26], v[33:34], v[25:26]
	v_add_f64 v[27:28], v[35:36], v[27:28]
	v_mul_f64 v[33:34], v[79:80], s[40:41]
	v_fma_f64 v[35:36], v[43:44], s[12:13], v[85:86]
	v_fma_f64 v[79:80], v[41:42], s[0:1], v[87:88]
	;; [unrolled: 1-line block ×3, first 2 shown]
	v_fma_f64 v[87:88], v[41:42], s[0:1], -v[87:88]
	v_fma_f64 v[43:44], v[43:44], s[40:41], v[53:54]
	v_fma_f64 v[53:54], v[41:42], s[38:39], v[55:56]
	v_fma_f64 v[41:42], v[41:42], s[38:39], -v[55:56]
	v_fma_f64 v[55:56], v[39:40], s[16:17], v[101:102]
	v_fma_f64 v[101:102], v[39:40], s[26:27], v[101:102]
	;; [unrolled: 1-line block ×7, first 2 shown]
	v_fma_f64 v[57:58], v[83:84], s[14:15], -v[57:58]
	v_fma_f64 v[183:184], v[83:84], s[28:29], v[107:108]
	v_add_f64 v[161:162], v[1:2], v[161:162]
	v_add_f64 v[163:164], v[3:4], v[163:164]
	v_fma_f64 v[185:186], v[83:84], s[38:39], v[109:110]
	v_add_f64 v[89:90], v[1:2], v[89:90]
	v_add_f64 v[165:166], v[1:2], v[165:166]
	;; [unrolled: 1-line block ×9, first 2 shown]
	v_fma_f64 v[107:108], v[83:84], s[28:29], -v[107:108]
	v_add_f64 v[91:92], v[3:4], v[91:92]
	v_mul_f64 v[141:142], v[71:72], s[10:11]
	v_fma_f64 v[189:190], v[65:66], s[26:27], v[117:118]
	v_mul_f64 v[143:144], v[71:72], s[40:41]
	v_fma_f64 v[115:116], v[65:66], s[42:43], v[115:116]
	v_fma_f64 v[117:118], v[65:66], s[16:17], v[117:118]
	v_add_f64 v[13:14], v[25:26], v[13:14]
	v_add_f64 v[15:16], v[27:28], v[15:16]
	v_fma_f64 v[27:28], v[83:84], s[18:19], v[111:112]
	v_add_f64 v[35:36], v[1:2], v[35:36]
	v_fma_f64 v[25:26], v[83:84], s[38:39], -v[109:110]
	v_add_f64 v[85:86], v[1:2], v[85:86]
	v_add_f64 v[87:88], v[3:4], v[87:88]
	v_fma_f64 v[109:110], v[83:84], s[18:19], -v[111:112]
	v_fma_f64 v[111:112], v[83:84], s[0:1], v[37:38]
	v_add_f64 v[53:54], v[3:4], v[53:54]
	v_fma_f64 v[37:38], v[83:84], s[0:1], -v[37:38]
	v_add_f64 v[1:2], v[1:2], v[43:44]
	v_add_f64 v[41:42], v[3:4], v[41:42]
	;; [unrolled: 1-line block ×4, first 2 shown]
	v_fma_f64 v[83:84], v[65:66], s[30:31], v[113:114]
	v_fma_f64 v[113:114], v[65:66], s[24:25], v[113:114]
	;; [unrolled: 1-line block ×4, first 2 shown]
	v_mul_f64 v[137:138], v[71:72], s[36:37]
	v_mul_f64 v[71:72], v[71:72], s[16:17]
	v_fma_f64 v[119:120], v[65:66], s[10:11], v[119:120]
	v_add_f64 v[89:90], v[103:104], v[89:90]
	v_fma_f64 v[193:194], v[65:66], s[34:35], v[59:60]
	v_add_f64 v[103:104], v[185:186], v[167:168]
	v_add_f64 v[93:94], v[105:106], v[93:94]
	v_add_f64 v[105:106], v[179:180], v[169:170]
	v_fma_f64 v[59:60], v[65:66], s[36:37], v[59:60]
	v_fma_f64 v[65:66], v[61:62], s[18:19], v[121:122]
	v_fma_f64 v[121:122], v[61:62], s[18:19], -v[121:122]
	v_fma_f64 v[99:100], v[61:62], s[14:15], -v[125:126]
	;; [unrolled: 1-line block ×3, first 2 shown]
	v_add_f64 v[46:47], v[46:47], v[97:98]
	v_add_f64 v[97:98], v[181:182], v[173:174]
	v_mul_f64 v[145:146], v[75:76], s[38:39]
	v_mul_f64 v[147:148], v[75:76], s[0:1]
	;; [unrolled: 1-line block ×4, first 2 shown]
	v_add_f64 v[13:14], v[13:14], v[21:22]
	v_add_f64 v[15:16], v[15:16], v[23:24]
	v_fma_f64 v[21:22], v[61:62], s[38:39], v[123:124]
	v_add_f64 v[35:36], v[55:56], v[35:36]
	v_fma_f64 v[23:24], v[61:62], s[38:39], -v[123:124]
	v_add_f64 v[55:56], v[101:102], v[85:86]
	v_add_f64 v[57:58], v[57:58], v[87:88]
	;; [unrolled: 1-line block ×5, first 2 shown]
	v_fma_f64 v[123:124], v[61:62], s[0:1], v[127:128]
	v_add_f64 v[27:28], v[27:28], v[171:172]
	v_fma_f64 v[127:128], v[61:62], s[28:29], v[63:64]
	v_add_f64 v[53:54], v[111:112], v[53:54]
	v_fma_f64 v[61:62], v[61:62], s[28:29], -v[63:64]
	v_add_f64 v[1:2], v[39:40], v[1:2]
	v_add_f64 v[37:38], v[37:38], v[41:42]
	;; [unrolled: 1-line block ×6, first 2 shown]
	v_mul_f64 v[75:76], v[75:76], s[18:19]
	v_fma_f64 v[63:64], v[73:74], s[34:35], v[129:130]
	v_fma_f64 v[129:130], v[73:74], s[36:37], v[129:130]
	;; [unrolled: 1-line block ×5, first 2 shown]
	v_add_f64 v[79:80], v[79:80], v[103:104]
	v_fma_f64 v[199:200], v[73:74], s[42:43], v[135:136]
	v_fma_f64 v[107:108], v[69:70], s[38:39], v[143:144]
	;; [unrolled: 1-line block ×4, first 2 shown]
	v_fma_f64 v[50:51], v[69:70], s[28:29], -v[137:138]
	v_fma_f64 v[111:112], v[69:70], s[14:15], v[71:72]
	v_add_f64 v[97:98], v[193:194], v[97:98]
	v_fma_f64 v[135:136], v[73:74], s[40:41], v[135:136]
	v_fma_f64 v[43:44], v[69:70], s[28:29], v[137:138]
	v_fma_f64 v[95:96], v[69:70], s[0:1], -v[141:142]
	v_add_f64 v[9:10], v[13:14], v[9:10]
	v_add_f64 v[11:12], v[15:16], v[11:12]
	v_fma_f64 v[13:14], v[73:74], s[26:27], v[67:68]
	v_fma_f64 v[15:16], v[73:74], s[16:17], v[67:68]
	;; [unrolled: 1-line block ×3, first 2 shown]
	v_add_f64 v[35:36], v[83:84], v[35:36]
	v_add_f64 v[55:56], v[113:114], v[55:56]
	;; [unrolled: 1-line block ×11, first 2 shown]
	v_fma_f64 v[73:74], v[69:70], s[18:19], -v[139:140]
	v_fma_f64 v[109:110], v[69:70], s[38:39], -v[143:144]
	;; [unrolled: 1-line block ×3, first 2 shown]
	v_add_f64 v[1:2], v[59:60], v[1:2]
	v_add_f64 v[37:38], v[61:62], v[37:38]
	;; [unrolled: 1-line block ×7, first 2 shown]
	v_fma_f64 v[71:72], v[81:82], s[42:43], v[145:146]
	v_fma_f64 v[137:138], v[81:82], s[40:41], v[145:146]
	;; [unrolled: 1-line block ×10, first 2 shown]
	v_fma_f64 v[101:102], v[77:78], s[28:29], -v[155:156]
	v_fma_f64 v[103:104], v[77:78], s[14:15], v[157:158]
	v_add_f64 v[9:10], v[9:10], v[17:18]
	v_add_f64 v[11:12], v[11:12], v[19:20]
	v_fma_f64 v[17:18], v[81:82], s[34:35], v[149:150]
	v_fma_f64 v[19:20], v[77:78], s[0:1], v[153:154]
	v_fma_f64 v[81:82], v[77:78], s[0:1], -v[153:154]
	v_fma_f64 v[105:106], v[77:78], s[14:15], -v[157:158]
	v_fma_f64 v[113:114], v[77:78], s[18:19], v[159:160]
	v_fma_f64 v[115:116], v[77:78], s[18:19], -v[159:160]
	v_fma_f64 v[117:118], v[77:78], s[38:39], -v[33:34]
	v_fma_f64 v[77:78], v[77:78], s[38:39], v[33:34]
	v_add_f64 v[33:34], v[63:64], v[35:36]
	v_add_f64 v[35:36], v[129:130], v[55:56]
	;; [unrolled: 1-line block ×20, first 2 shown]
	s_load_b64 s[46:47], s[46:47], 0x0
	v_add_f64 v[5:6], v[9:10], v[5:6]
	v_add_f64 v[89:90], v[11:12], v[7:8]
	;; [unrolled: 1-line block ×24, first 2 shown]
	v_mad_u32_u24 v6, 0x790, v49, 0
	s_delay_alu instid0(VALU_DEP_1)
	v_lshl_add_u32 v5, v52, 4, v6
	ds_store_b128 v5, v[11:14] offset:352
	ds_store_b128 v5, v[19:22] offset:528
	;; [unrolled: 1-line block ×9, first 2 shown]
	ds_store_b128 v5, v[27:30]
	ds_store_b128 v5, v[1:4] offset:176
	s_waitcnt lgkmcnt(0)
	s_barrier
	buffer_gl0_inv
	s_and_saveexec_b32 s33, s23
	s_cbranch_execz .LBB0_36
; %bb.35:
	v_mul_lo_u16 v1, v49, 24
	v_mul_i32_i24_e32 v11, 0xfffff920, v49
	v_lshlrev_b32_e32 v12, 4, v52
	s_movk_i32 s23, 0x1000
	s_movk_i32 s33, 0xff0
	v_lshrrev_b16 v1, 8, v1
	s_delay_alu instid0(VALU_DEP_2) | instskip(NEXT) | instid1(VALU_DEP_2)
	v_add3_u32 v54, v6, v11, v12
	v_mul_lo_u16 v1, v1, 11
	s_delay_alu instid0(VALU_DEP_1) | instskip(NEXT) | instid1(VALU_DEP_1)
	v_sub_nc_u16 v1, v49, v1
	v_and_b32_e32 v53, 0xff, v1
	s_delay_alu instid0(VALU_DEP_1) | instskip(NEXT) | instid1(VALU_DEP_1)
	v_mul_u32_u24_e32 v1, 10, v53
	v_lshlrev_b32_e32 v5, 4, v1
	s_clause 0x1
	global_load_b128 v[1:4], v5, s[44:45] offset:64
	global_load_b128 v[7:10], v5, s[44:45] offset:80
	ds_load_b128 v[11:14], v54 offset:9680
	ds_load_b128 v[27:30], v54 offset:7744
	s_waitcnt vmcnt(1) lgkmcnt(1)
	v_mul_f64 v[15:16], v[11:12], v[3:4]
	v_mul_f64 v[3:4], v[13:14], v[3:4]
	s_delay_alu instid0(VALU_DEP_2) | instskip(NEXT) | instid1(VALU_DEP_2)
	v_fma_f64 v[17:18], v[13:14], v[1:2], v[15:16]
	v_fma_f64 v[19:20], v[11:12], v[1:2], -v[3:4]
	ds_load_b128 v[1:4], v54 offset:11616
	ds_load_b128 v[11:14], v54 offset:13552
	s_waitcnt vmcnt(0) lgkmcnt(1)
	v_mul_f64 v[15:16], v[1:2], v[9:10]
	s_delay_alu instid0(VALU_DEP_1) | instskip(SKIP_1) | instid1(VALU_DEP_1)
	v_fma_f64 v[21:22], v[3:4], v[7:8], v[15:16]
	v_mul_f64 v[3:4], v[3:4], v[9:10]
	v_fma_f64 v[23:24], v[1:2], v[7:8], -v[3:4]
	s_clause 0x1
	global_load_b128 v[1:4], v5, s[44:45] offset:48
	global_load_b128 v[6:9], v5, s[44:45] offset:32
	v_add_f64 v[146:147], v[19:20], v[23:24]
	v_add_f64 v[152:153], v[19:20], -v[23:24]
	s_waitcnt vmcnt(1)
	v_mul_f64 v[15:16], v[27:28], v[3:4]
	v_mul_f64 v[3:4], v[29:30], v[3:4]
	s_delay_alu instid0(VALU_DEP_2) | instskip(NEXT) | instid1(VALU_DEP_2)
	v_fma_f64 v[25:26], v[29:30], v[1:2], v[15:16]
	v_fma_f64 v[27:28], v[27:28], v[1:2], -v[3:4]
	s_clause 0x1
	global_load_b128 v[1:4], v5, s[44:45] offset:96
	global_load_b128 v[39:42], v5, s[44:45] offset:112
	s_waitcnt vmcnt(1) lgkmcnt(0)
	v_mul_f64 v[15:16], v[11:12], v[3:4]
	v_mul_f64 v[3:4], v[13:14], v[3:4]
	s_delay_alu instid0(VALU_DEP_2) | instskip(NEXT) | instid1(VALU_DEP_2)
	v_fma_f64 v[29:30], v[13:14], v[1:2], v[15:16]
	v_fma_f64 v[31:32], v[11:12], v[1:2], -v[3:4]
	ds_load_b128 v[1:4], v54 offset:5808
	ds_load_b128 v[10:13], v54 offset:3872
	s_waitcnt lgkmcnt(1)
	v_mul_f64 v[14:15], v[1:2], v[8:9]
	s_delay_alu instid0(VALU_DEP_1) | instskip(SKIP_1) | instid1(VALU_DEP_1)
	v_fma_f64 v[33:34], v[3:4], v[6:7], v[14:15]
	v_mul_f64 v[3:4], v[3:4], v[8:9]
	v_fma_f64 v[35:36], v[1:2], v[6:7], -v[3:4]
	ds_load_b128 v[1:4], v54 offset:15488
	ds_load_b128 v[55:58], v54 offset:17424
	s_waitcnt vmcnt(0) lgkmcnt(1)
	v_mul_f64 v[6:7], v[1:2], v[41:42]
	s_delay_alu instid0(VALU_DEP_1) | instskip(SKIP_1) | instid1(VALU_DEP_1)
	v_fma_f64 v[37:38], v[3:4], v[39:40], v[6:7]
	v_mul_f64 v[3:4], v[3:4], v[41:42]
	v_fma_f64 v[39:40], v[1:2], v[39:40], -v[3:4]
	s_clause 0x1
	global_load_b128 v[6:9], v5, s[44:45] offset:16
	global_load_b128 v[1:4], v5, s[44:45]
	s_waitcnt vmcnt(1)
	v_mul_f64 v[14:15], v[10:11], v[8:9]
	v_mul_f64 v[8:9], v[12:13], v[8:9]
	s_delay_alu instid0(VALU_DEP_2) | instskip(NEXT) | instid1(VALU_DEP_2)
	v_fma_f64 v[43:44], v[12:13], v[6:7], v[14:15]
	v_fma_f64 v[48:49], v[10:11], v[6:7], -v[8:9]
	s_clause 0x1
	global_load_b128 v[9:12], v5, s[44:45] offset:128
	global_load_b128 v[5:8], v5, s[44:45] offset:144
	s_waitcnt vmcnt(1) lgkmcnt(0)
	v_mul_f64 v[13:14], v[55:56], v[11:12]
	v_mul_f64 v[11:12], v[57:58], v[11:12]
	s_delay_alu instid0(VALU_DEP_2) | instskip(NEXT) | instid1(VALU_DEP_2)
	v_fma_f64 v[41:42], v[57:58], v[9:10], v[13:14]
	v_fma_f64 v[46:47], v[55:56], v[9:10], -v[11:12]
	ds_load_b128 v[9:12], v54 offset:1936
	ds_load_b128 v[13:16], v54
	ds_load_b128 v[54:57], v54 offset:19360
	s_waitcnt lgkmcnt(2)
	v_mul_f64 v[50:51], v[9:10], v[3:4]
	v_mul_f64 v[3:4], v[11:12], v[3:4]
	s_delay_alu instid0(VALU_DEP_2) | instskip(NEXT) | instid1(VALU_DEP_2)
	v_fma_f64 v[50:51], v[11:12], v[1:2], v[50:51]
	v_fma_f64 v[9:10], v[9:10], v[1:2], -v[3:4]
	s_waitcnt vmcnt(0) lgkmcnt(0)
	v_mul_f64 v[1:2], v[54:55], v[7:8]
	v_mul_f64 v[3:4], v[56:57], v[7:8]
	s_delay_alu instid0(VALU_DEP_2) | instskip(NEXT) | instid1(VALU_DEP_2)
	v_fma_f64 v[1:2], v[56:57], v[5:6], v[1:2]
	v_fma_f64 v[3:4], v[54:55], v[5:6], -v[3:4]
	v_mul_lo_u32 v5, v45, v53
	s_delay_alu instid0(VALU_DEP_1) | instskip(SKIP_2) | instid1(VALU_DEP_3)
	v_lshrrev_b32_e32 v6, 4, v5
	v_and_b32_e32 v7, 0xff, v5
	v_lshrrev_b32_e32 v5, 12, v5
	v_and_or_b32 v6, 0xff0, v6, s23
	s_delay_alu instid0(VALU_DEP_3) | instskip(NEXT) | instid1(VALU_DEP_3)
	v_lshlrev_b32_e32 v11, 4, v7
	v_and_or_b32 v12, v5, s33, 0x2000
	s_clause 0x2
	global_load_b128 v[5:8], v6, s[8:9]
	global_load_b128 v[54:57], v11, s[8:9]
	;; [unrolled: 1-line block ×3, first 2 shown]
	s_waitcnt vmcnt(1)
	v_mul_f64 v[11:12], v[56:57], v[7:8]
	v_mul_f64 v[7:8], v[54:55], v[7:8]
	s_delay_alu instid0(VALU_DEP_2) | instskip(NEXT) | instid1(VALU_DEP_2)
	v_fma_f64 v[11:12], v[54:55], v[5:6], -v[11:12]
	v_fma_f64 v[102:103], v[56:57], v[5:6], v[7:8]
	v_add_nc_u32_e32 v5, 0x6e, v53
	v_add_nc_u32_e32 v6, 0x63, v53
	s_delay_alu instid0(VALU_DEP_2) | instskip(NEXT) | instid1(VALU_DEP_2)
	v_mul_lo_u32 v5, v45, v5
	v_mul_lo_u32 v72, v45, v6
	s_delay_alu instid0(VALU_DEP_2) | instskip(SKIP_2) | instid1(VALU_DEP_3)
	v_and_b32_e32 v6, 0xff, v5
	v_lshrrev_b32_e32 v7, 4, v5
	v_lshrrev_b32_e32 v5, 12, v5
	v_lshlrev_b32_e32 v54, 4, v6
	s_delay_alu instid0(VALU_DEP_3) | instskip(NEXT) | instid1(VALU_DEP_3)
	v_and_or_b32 v6, 0xff0, v7, s23
	v_and_or_b32 v62, v5, s33, 0x2000
	v_lshrrev_b32_e32 v5, 12, v72
	s_delay_alu instid0(VALU_DEP_1)
	v_and_or_b32 v66, v5, s33, 0x2000
	s_clause 0x3
	global_load_b128 v[5:8], v6, s[8:9]
	global_load_b128 v[54:57], v54, s[8:9]
	global_load_b128 v[62:65], v62, s[8:9]
	global_load_b128 v[66:69], v66, s[8:9]
	s_waitcnt vmcnt(2)
	v_mul_f64 v[70:71], v[56:57], v[7:8]
	v_mul_f64 v[7:8], v[54:55], v[7:8]
	s_delay_alu instid0(VALU_DEP_2) | instskip(NEXT) | instid1(VALU_DEP_2)
	v_fma_f64 v[104:105], v[54:55], v[5:6], -v[70:71]
	v_fma_f64 v[106:107], v[56:57], v[5:6], v[7:8]
	v_and_b32_e32 v5, 0xff, v72
	v_lshrrev_b32_e32 v6, 4, v72
	s_delay_alu instid0(VALU_DEP_2) | instskip(NEXT) | instid1(VALU_DEP_2)
	v_lshlrev_b32_e32 v5, 4, v5
	v_and_or_b32 v54, 0xff0, v6, s23
	s_clause 0x1
	global_load_b128 v[5:8], v5, s[8:9]
	global_load_b128 v[54:57], v54, s[8:9]
	s_waitcnt vmcnt(0)
	v_mul_f64 v[70:71], v[7:8], v[56:57]
	s_delay_alu instid0(VALU_DEP_1) | instskip(SKIP_1) | instid1(VALU_DEP_1)
	v_fma_f64 v[108:109], v[5:6], v[54:55], -v[70:71]
	v_mul_f64 v[5:6], v[5:6], v[56:57]
	v_fma_f64 v[110:111], v[7:8], v[54:55], v[5:6]
	v_add_nc_u32_e32 v5, 0x58, v53
	v_add_nc_u32_e32 v6, 0x4d, v53
	s_delay_alu instid0(VALU_DEP_2) | instskip(NEXT) | instid1(VALU_DEP_2)
	v_mul_lo_u32 v5, v45, v5
	v_mul_lo_u32 v80, v45, v6
	s_delay_alu instid0(VALU_DEP_2) | instskip(SKIP_2) | instid1(VALU_DEP_3)
	v_and_b32_e32 v6, 0xff, v5
	v_lshrrev_b32_e32 v7, 4, v5
	v_lshrrev_b32_e32 v5, 12, v5
	v_lshlrev_b32_e32 v54, 4, v6
	s_delay_alu instid0(VALU_DEP_3) | instskip(NEXT) | instid1(VALU_DEP_3)
	v_and_or_b32 v6, 0xff0, v7, s23
	v_and_or_b32 v70, v5, s33, 0x2000
	v_lshrrev_b32_e32 v5, 12, v80
	s_delay_alu instid0(VALU_DEP_1)
	v_and_or_b32 v74, v5, s33, 0x2000
	s_clause 0x3
	global_load_b128 v[5:8], v6, s[8:9]
	global_load_b128 v[54:57], v54, s[8:9]
	global_load_b128 v[70:73], v70, s[8:9]
	global_load_b128 v[74:77], v74, s[8:9]
	s_waitcnt vmcnt(2)
	v_mul_f64 v[78:79], v[56:57], v[7:8]
	v_mul_f64 v[7:8], v[54:55], v[7:8]
	s_delay_alu instid0(VALU_DEP_2) | instskip(NEXT) | instid1(VALU_DEP_2)
	v_fma_f64 v[112:113], v[54:55], v[5:6], -v[78:79]
	v_fma_f64 v[114:115], v[56:57], v[5:6], v[7:8]
	v_and_b32_e32 v5, 0xff, v80
	v_lshrrev_b32_e32 v6, 4, v80
	s_delay_alu instid0(VALU_DEP_2) | instskip(NEXT) | instid1(VALU_DEP_2)
	v_lshlrev_b32_e32 v5, 4, v5
	v_and_or_b32 v54, 0xff0, v6, s23
	s_clause 0x1
	global_load_b128 v[5:8], v5, s[8:9]
	global_load_b128 v[54:57], v54, s[8:9]
	s_waitcnt vmcnt(0)
	v_mul_f64 v[78:79], v[7:8], v[56:57]
	s_delay_alu instid0(VALU_DEP_1) | instskip(SKIP_1) | instid1(VALU_DEP_1)
	v_fma_f64 v[116:117], v[5:6], v[54:55], -v[78:79]
	v_mul_f64 v[5:6], v[5:6], v[56:57]
	;; [unrolled: 41-line block ×4, first 2 shown]
	v_fma_f64 v[134:135], v[7:8], v[54:55], v[5:6]
	v_add_nc_u32_e32 v5, 22, v53
	v_add_nc_u32_e32 v6, 11, v53
	s_delay_alu instid0(VALU_DEP_2) | instskip(NEXT) | instid1(VALU_DEP_2)
	v_mul_lo_u32 v5, v45, v5
	v_mul_lo_u32 v45, v45, v6
	s_delay_alu instid0(VALU_DEP_2) | instskip(SKIP_2) | instid1(VALU_DEP_3)
	v_and_b32_e32 v6, 0xff, v5
	v_lshrrev_b32_e32 v7, 4, v5
	v_lshrrev_b32_e32 v5, 12, v5
	v_lshlrev_b32_e32 v54, 4, v6
	s_delay_alu instid0(VALU_DEP_3) | instskip(NEXT) | instid1(VALU_DEP_3)
	v_and_or_b32 v6, 0xff0, v7, s23
	v_and_or_b32 v94, v5, s33, 0x2000
	v_lshrrev_b32_e32 v5, 12, v45
	s_delay_alu instid0(VALU_DEP_1)
	v_and_or_b32 v98, v5, s33, 0x2000
	s_clause 0x3
	global_load_b128 v[5:8], v6, s[8:9]
	global_load_b128 v[54:57], v54, s[8:9]
	;; [unrolled: 1-line block ×4, first 2 shown]
	s_waitcnt vmcnt(2)
	v_mul_f64 v[136:137], v[56:57], v[7:8]
	v_mul_f64 v[7:8], v[54:55], v[7:8]
	s_delay_alu instid0(VALU_DEP_2) | instskip(NEXT) | instid1(VALU_DEP_2)
	v_fma_f64 v[136:137], v[54:55], v[5:6], -v[136:137]
	v_fma_f64 v[138:139], v[56:57], v[5:6], v[7:8]
	v_and_b32_e32 v5, 0xff, v45
	v_lshrrev_b32_e32 v6, 4, v45
	s_delay_alu instid0(VALU_DEP_2) | instskip(NEXT) | instid1(VALU_DEP_2)
	v_lshlrev_b32_e32 v5, 4, v5
	v_and_or_b32 v45, 0xff0, v6, s23
	s_clause 0x1
	global_load_b128 v[5:8], v5, s[8:9]
	global_load_b128 v[54:57], v45, s[8:9]
	s_waitcnt vmcnt(0)
	v_mul_f64 v[140:141], v[7:8], v[56:57]
	s_delay_alu instid0(VALU_DEP_1) | instskip(SKIP_2) | instid1(VALU_DEP_2)
	v_fma_f64 v[140:141], v[5:6], v[54:55], -v[140:141]
	v_mul_f64 v[5:6], v[5:6], v[56:57]
	v_mul_f64 v[56:57], v[110:111], v[68:69]
	v_fma_f64 v[5:6], v[7:8], v[54:55], v[5:6]
	v_mul_f64 v[7:8], v[102:103], v[60:61]
	s_delay_alu instid0(VALU_DEP_1) | instskip(SKIP_1) | instid1(VALU_DEP_1)
	v_fma_f64 v[142:143], v[58:59], v[11:12], -v[7:8]
	v_mul_f64 v[7:8], v[11:12], v[60:61]
	v_fma_f64 v[11:12], v[58:59], v[102:103], v[7:8]
	v_mul_f64 v[7:8], v[106:107], v[64:65]
	v_fma_f64 v[102:103], v[66:67], v[108:109], -v[56:57]
	v_mul_f64 v[56:57], v[108:109], v[68:69]
	s_delay_alu instid0(VALU_DEP_3) | instskip(SKIP_1) | instid1(VALU_DEP_3)
	v_fma_f64 v[54:55], v[62:63], v[104:105], -v[7:8]
	v_mul_f64 v[7:8], v[104:105], v[64:65]
	v_fma_f64 v[104:105], v[66:67], v[110:111], v[56:57]
	v_mul_f64 v[56:57], v[112:113], v[72:73]
	s_delay_alu instid0(VALU_DEP_3) | instskip(NEXT) | instid1(VALU_DEP_2)
	v_fma_f64 v[7:8], v[62:63], v[106:107], v[7:8]
	v_fma_f64 v[106:107], v[70:71], v[114:115], v[56:57]
	v_mul_f64 v[56:57], v[114:115], v[72:73]
	v_add_f64 v[114:115], v[48:49], v[46:47]
	s_delay_alu instid0(VALU_DEP_2) | instskip(SKIP_1) | instid1(VALU_DEP_1)
	v_fma_f64 v[108:109], v[70:71], v[112:113], -v[56:57]
	v_mul_f64 v[56:57], v[116:117], v[76:77]
	v_fma_f64 v[110:111], v[74:75], v[118:119], v[56:57]
	v_mul_f64 v[56:57], v[118:119], v[76:77]
	s_delay_alu instid0(VALU_DEP_1) | instskip(SKIP_1) | instid1(VALU_DEP_1)
	v_fma_f64 v[112:113], v[74:75], v[116:117], -v[56:57]
	v_mul_f64 v[56:57], v[120:121], v[80:81]
	v_fma_f64 v[74:75], v[78:79], v[122:123], v[56:57]
	v_mul_f64 v[56:57], v[122:123], v[80:81]
	v_add_f64 v[80:81], v[50:51], v[1:2]
	s_delay_alu instid0(VALU_DEP_2) | instskip(SKIP_2) | instid1(VALU_DEP_2)
	v_fma_f64 v[78:79], v[78:79], v[120:121], -v[56:57]
	v_mul_f64 v[56:57], v[124:125], v[84:85]
	v_add_f64 v[120:121], v[35:36], -v[39:40]
	v_fma_f64 v[70:71], v[82:83], v[126:127], v[56:57]
	v_mul_f64 v[56:57], v[126:127], v[84:85]
	v_add_f64 v[84:85], v[43:44], v[41:42]
	v_add_f64 v[126:127], v[35:36], v[39:40]
	s_delay_alu instid0(VALU_DEP_3) | instskip(SKIP_2) | instid1(VALU_DEP_2)
	v_fma_f64 v[76:77], v[82:83], v[124:125], -v[56:57]
	v_mul_f64 v[56:57], v[128:129], v[88:89]
	v_mul_f64 v[82:83], v[80:81], s[0:1]
	v_fma_f64 v[66:67], v[86:87], v[130:131], v[56:57]
	v_mul_f64 v[56:57], v[130:131], v[88:89]
	v_add_f64 v[88:89], v[48:49], -v[46:47]
	s_delay_alu instid0(VALU_DEP_2) | instskip(SKIP_2) | instid1(VALU_DEP_2)
	v_fma_f64 v[72:73], v[86:87], v[128:129], -v[56:57]
	v_mul_f64 v[56:57], v[132:133], v[92:93]
	v_add_f64 v[86:87], v[9:10], -v[3:4]
	v_fma_f64 v[62:63], v[90:91], v[134:135], v[56:57]
	v_mul_f64 v[56:57], v[134:135], v[92:93]
	s_delay_alu instid0(VALU_DEP_1) | instskip(SKIP_3) | instid1(VALU_DEP_3)
	v_fma_f64 v[68:69], v[90:91], v[132:133], -v[56:57]
	v_mul_f64 v[56:57], v[136:137], v[96:97]
	v_mul_f64 v[90:91], v[84:85], s[14:15]
	v_add_f64 v[132:133], v[27:28], -v[31:32]
	v_fma_f64 v[58:59], v[94:95], v[138:139], v[56:57]
	v_mul_f64 v[56:57], v[138:139], v[96:97]
	s_delay_alu instid0(VALU_DEP_4) | instskip(SKIP_1) | instid1(VALU_DEP_3)
	v_fma_f64 v[92:93], v[88:89], s[16:17], v[90:91]
	v_add_f64 v[138:139], v[27:28], v[31:32]
	v_fma_f64 v[64:65], v[94:95], v[136:137], -v[56:57]
	v_mul_f64 v[56:57], v[140:141], v[100:101]
	v_add_f64 v[94:95], v[9:10], v[3:4]
	v_add_f64 v[9:10], v[13:14], v[9:10]
	s_delay_alu instid0(VALU_DEP_3) | instskip(SKIP_2) | instid1(VALU_DEP_4)
	v_fma_f64 v[56:57], v[98:99], v[5:6], v[56:57]
	v_mul_f64 v[5:6], v[5:6], v[100:101]
	v_add_f64 v[100:101], v[43:44], -v[41:42]
	v_add_f64 v[9:10], v[9:10], v[48:49]
	s_delay_alu instid0(VALU_DEP_3) | instskip(SKIP_1) | instid1(VALU_DEP_4)
	v_fma_f64 v[60:61], v[98:99], v[140:141], -v[5:6]
	v_fma_f64 v[5:6], v[86:87], s[12:13], v[82:83]
	v_mul_f64 v[116:117], v[100:101], s[26:27]
	v_mul_f64 v[162:163], v[100:101], s[42:43]
	;; [unrolled: 1-line block ×3, first 2 shown]
	v_add_f64 v[9:10], v[9:10], v[35:36]
	v_add_f64 v[5:6], v[15:16], v[5:6]
	v_fma_f64 v[118:119], v[114:115], s[14:15], v[116:117]
	v_fma_f64 v[164:165], v[114:115], s[38:39], -v[162:163]
	v_fma_f64 v[184:185], v[114:115], s[18:19], -v[182:183]
	v_add_f64 v[9:10], v[9:10], v[27:28]
	v_add_f64 v[5:6], v[92:93], v[5:6]
	v_add_f64 v[92:93], v[50:51], -v[1:2]
	s_delay_alu instid0(VALU_DEP_3) | instskip(NEXT) | instid1(VALU_DEP_2)
	v_add_f64 v[9:10], v[9:10], v[19:20]
	v_mul_f64 v[96:97], v[92:93], s[10:11]
	s_delay_alu instid0(VALU_DEP_2) | instskip(NEXT) | instid1(VALU_DEP_2)
	v_add_f64 v[9:10], v[9:10], v[23:24]
	v_fma_f64 v[98:99], v[94:95], s[0:1], v[96:97]
	s_delay_alu instid0(VALU_DEP_2) | instskip(NEXT) | instid1(VALU_DEP_2)
	v_add_f64 v[9:10], v[9:10], v[31:32]
	v_add_f64 v[98:99], v[13:14], v[98:99]
	s_delay_alu instid0(VALU_DEP_2) | instskip(NEXT) | instid1(VALU_DEP_2)
	v_add_f64 v[9:10], v[9:10], v[39:40]
	v_add_f64 v[98:99], v[118:119], v[98:99]
	;; [unrolled: 1-line block ×3, first 2 shown]
	s_delay_alu instid0(VALU_DEP_3) | instskip(NEXT) | instid1(VALU_DEP_2)
	v_add_f64 v[9:10], v[9:10], v[46:47]
	v_mul_f64 v[122:123], v[118:119], s[18:19]
	s_delay_alu instid0(VALU_DEP_2) | instskip(NEXT) | instid1(VALU_DEP_2)
	v_add_f64 v[9:10], v[9:10], v[3:4]
	v_fma_f64 v[124:125], v[120:121], s[30:31], v[122:123]
	s_delay_alu instid0(VALU_DEP_2) | instskip(NEXT) | instid1(VALU_DEP_2)
	v_mul_f64 v[3:4], v[9:10], v[11:12]
	v_add_f64 v[5:6], v[124:125], v[5:6]
	v_add_f64 v[124:125], v[33:34], -v[37:38]
	s_delay_alu instid0(VALU_DEP_1) | instskip(NEXT) | instid1(VALU_DEP_1)
	v_mul_f64 v[128:129], v[124:125], s[24:25]
	v_fma_f64 v[130:131], v[126:127], s[18:19], v[128:129]
	s_delay_alu instid0(VALU_DEP_1) | instskip(SKIP_1) | instid1(VALU_DEP_1)
	v_add_f64 v[98:99], v[130:131], v[98:99]
	v_add_f64 v[130:131], v[25:26], v[29:30]
	v_mul_f64 v[134:135], v[130:131], s[28:29]
	s_delay_alu instid0(VALU_DEP_1) | instskip(NEXT) | instid1(VALU_DEP_1)
	v_fma_f64 v[136:137], v[132:133], s[34:35], v[134:135]
	v_add_f64 v[5:6], v[136:137], v[5:6]
	v_add_f64 v[136:137], v[25:26], -v[29:30]
	s_delay_alu instid0(VALU_DEP_1) | instskip(NEXT) | instid1(VALU_DEP_1)
	v_mul_f64 v[140:141], v[136:137], s[36:37]
	v_fma_f64 v[144:145], v[138:139], s[28:29], v[140:141]
	s_delay_alu instid0(VALU_DEP_1) | instskip(SKIP_1) | instid1(VALU_DEP_1)
	v_add_f64 v[98:99], v[144:145], v[98:99]
	v_add_f64 v[144:145], v[17:18], -v[21:22]
	v_mul_f64 v[148:149], v[144:145], s[40:41]
	s_delay_alu instid0(VALU_DEP_1) | instskip(NEXT) | instid1(VALU_DEP_1)
	v_fma_f64 v[150:151], v[146:147], s[38:39], v[148:149]
	v_add_f64 v[98:99], v[150:151], v[98:99]
	v_add_f64 v[150:151], v[17:18], v[21:22]
	s_delay_alu instid0(VALU_DEP_1) | instskip(NEXT) | instid1(VALU_DEP_1)
	v_mul_f64 v[154:155], v[150:151], s[38:39]
	v_fma_f64 v[156:157], v[152:153], s[42:43], v[154:155]
	s_delay_alu instid0(VALU_DEP_1) | instskip(SKIP_1) | instid1(VALU_DEP_2)
	v_add_f64 v[5:6], v[156:157], v[5:6]
	v_mul_f64 v[156:157], v[98:99], v[7:8]
	v_mul_f64 v[158:159], v[5:6], v[7:8]
	s_delay_alu instid0(VALU_DEP_2) | instskip(NEXT) | instid1(VALU_DEP_2)
	v_fma_f64 v[7:8], v[5:6], v[54:55], v[156:157]
	v_fma_f64 v[5:6], v[98:99], v[54:55], -v[158:159]
	v_fma_f64 v[54:55], v[86:87], s[10:11], v[82:83]
	v_fma_f64 v[82:83], v[88:89], s[26:27], v[90:91]
	v_fma_f64 v[90:91], v[114:115], s[14:15], -v[116:117]
	v_mul_f64 v[98:99], v[92:93], s[26:27]
	v_mul_f64 v[116:117], v[100:101], s[36:37]
	;; [unrolled: 1-line block ×3, first 2 shown]
	v_add_f64 v[54:55], v[15:16], v[54:55]
	s_delay_alu instid0(VALU_DEP_1) | instskip(SKIP_1) | instid1(VALU_DEP_1)
	v_add_f64 v[54:55], v[82:83], v[54:55]
	v_fma_f64 v[82:83], v[94:95], s[0:1], -v[96:97]
	v_add_f64 v[82:83], v[13:14], v[82:83]
	s_delay_alu instid0(VALU_DEP_1) | instskip(SKIP_2) | instid1(VALU_DEP_2)
	v_add_f64 v[82:83], v[90:91], v[82:83]
	v_fma_f64 v[90:91], v[120:121], s[24:25], v[122:123]
	v_fma_f64 v[122:123], v[114:115], s[28:29], -v[116:117]
	v_add_f64 v[54:55], v[90:91], v[54:55]
	v_fma_f64 v[90:91], v[126:127], s[18:19], -v[128:129]
	s_delay_alu instid0(VALU_DEP_1) | instskip(SKIP_1) | instid1(VALU_DEP_1)
	v_add_f64 v[82:83], v[90:91], v[82:83]
	v_fma_f64 v[90:91], v[132:133], s[36:37], v[134:135]
	v_add_f64 v[54:55], v[90:91], v[54:55]
	v_fma_f64 v[90:91], v[138:139], s[28:29], -v[140:141]
	s_delay_alu instid0(VALU_DEP_1) | instskip(SKIP_1) | instid1(VALU_DEP_1)
	v_add_f64 v[82:83], v[90:91], v[82:83]
	v_fma_f64 v[90:91], v[146:147], s[38:39], -v[148:149]
	v_add_f64 v[82:83], v[90:91], v[82:83]
	v_fma_f64 v[90:91], v[152:153], s[40:41], v[154:155]
	s_delay_alu instid0(VALU_DEP_1) | instskip(NEXT) | instid1(VALU_DEP_3)
	v_add_f64 v[54:55], v[90:91], v[54:55]
	v_mul_f64 v[90:91], v[82:83], v[56:57]
	s_delay_alu instid0(VALU_DEP_2) | instskip(NEXT) | instid1(VALU_DEP_2)
	v_mul_f64 v[96:97], v[54:55], v[56:57]
	v_fma_f64 v[56:57], v[54:55], v[60:61], v[90:91]
	v_mul_f64 v[90:91], v[80:81], s[14:15]
	s_delay_alu instid0(VALU_DEP_3) | instskip(SKIP_1) | instid1(VALU_DEP_3)
	v_fma_f64 v[54:55], v[82:83], v[60:61], -v[96:97]
	v_mul_f64 v[96:97], v[84:85], s[28:29]
	v_fma_f64 v[60:61], v[86:87], s[26:27], v[90:91]
	s_delay_alu instid0(VALU_DEP_2) | instskip(NEXT) | instid1(VALU_DEP_2)
	v_fma_f64 v[82:83], v[88:89], s[36:37], v[96:97]
	v_add_f64 v[60:61], v[15:16], v[60:61]
	s_delay_alu instid0(VALU_DEP_1) | instskip(SKIP_1) | instid1(VALU_DEP_1)
	v_add_f64 v[60:61], v[82:83], v[60:61]
	v_fma_f64 v[82:83], v[94:95], s[14:15], -v[98:99]
	v_add_f64 v[82:83], v[13:14], v[82:83]
	s_delay_alu instid0(VALU_DEP_1) | instskip(SKIP_1) | instid1(VALU_DEP_1)
	v_add_f64 v[82:83], v[122:123], v[82:83]
	v_mul_f64 v[122:123], v[118:119], s[38:39]
	v_fma_f64 v[128:129], v[120:121], s[42:43], v[122:123]
	s_delay_alu instid0(VALU_DEP_1) | instskip(SKIP_1) | instid1(VALU_DEP_1)
	v_add_f64 v[60:61], v[128:129], v[60:61]
	v_mul_f64 v[128:129], v[124:125], s[42:43]
	v_fma_f64 v[134:135], v[126:127], s[38:39], -v[128:129]
	s_delay_alu instid0(VALU_DEP_1) | instskip(SKIP_1) | instid1(VALU_DEP_1)
	v_add_f64 v[82:83], v[134:135], v[82:83]
	v_mul_f64 v[134:135], v[130:131], s[18:19]
	v_fma_f64 v[140:141], v[132:133], s[30:31], v[134:135]
	s_delay_alu instid0(VALU_DEP_1) | instskip(SKIP_1) | instid1(VALU_DEP_1)
	v_add_f64 v[60:61], v[140:141], v[60:61]
	v_mul_f64 v[140:141], v[136:137], s[30:31]
	v_fma_f64 v[148:149], v[138:139], s[18:19], -v[140:141]
	s_delay_alu instid0(VALU_DEP_1) | instskip(SKIP_1) | instid1(VALU_DEP_1)
	v_add_f64 v[82:83], v[148:149], v[82:83]
	v_mul_f64 v[148:149], v[144:145], s[12:13]
	v_fma_f64 v[154:155], v[146:147], s[0:1], -v[148:149]
	s_delay_alu instid0(VALU_DEP_1) | instskip(SKIP_1) | instid1(VALU_DEP_1)
	v_add_f64 v[82:83], v[154:155], v[82:83]
	v_mul_f64 v[154:155], v[150:151], s[0:1]
	v_fma_f64 v[156:157], v[152:153], s[12:13], v[154:155]
	s_delay_alu instid0(VALU_DEP_1) | instskip(NEXT) | instid1(VALU_DEP_4)
	v_add_f64 v[60:61], v[156:157], v[60:61]
	v_mul_f64 v[156:157], v[82:83], v[58:59]
	s_delay_alu instid0(VALU_DEP_2) | instskip(NEXT) | instid1(VALU_DEP_2)
	v_mul_f64 v[58:59], v[60:61], v[58:59]
	v_fma_f64 v[60:61], v[60:61], v[64:65], v[156:157]
	v_mul_f64 v[156:157], v[84:85], s[38:39]
	s_delay_alu instid0(VALU_DEP_3) | instskip(SKIP_1) | instid1(VALU_DEP_3)
	v_fma_f64 v[58:59], v[82:83], v[64:65], -v[58:59]
	v_mul_f64 v[82:83], v[80:81], s[18:19]
	v_fma_f64 v[158:159], v[88:89], s[42:43], v[156:157]
	s_delay_alu instid0(VALU_DEP_2) | instskip(SKIP_1) | instid1(VALU_DEP_2)
	v_fma_f64 v[64:65], v[86:87], s[24:25], v[82:83]
	v_fma_f64 v[82:83], v[86:87], s[30:31], v[82:83]
	v_add_f64 v[64:65], v[15:16], v[64:65]
	s_delay_alu instid0(VALU_DEP_2) | instskip(NEXT) | instid1(VALU_DEP_2)
	v_add_f64 v[82:83], v[15:16], v[82:83]
	v_add_f64 v[64:65], v[158:159], v[64:65]
	v_mul_f64 v[158:159], v[92:93], s[24:25]
	s_delay_alu instid0(VALU_DEP_1) | instskip(NEXT) | instid1(VALU_DEP_1)
	v_fma_f64 v[160:161], v[94:95], s[18:19], -v[158:159]
	v_add_f64 v[160:161], v[13:14], v[160:161]
	s_delay_alu instid0(VALU_DEP_1) | instskip(SKIP_1) | instid1(VALU_DEP_1)
	v_add_f64 v[160:161], v[164:165], v[160:161]
	v_mul_f64 v[164:165], v[118:119], s[14:15]
	v_fma_f64 v[166:167], v[120:121], s[16:17], v[164:165]
	s_delay_alu instid0(VALU_DEP_1) | instskip(SKIP_1) | instid1(VALU_DEP_1)
	v_add_f64 v[64:65], v[166:167], v[64:65]
	v_mul_f64 v[166:167], v[124:125], s[16:17]
	v_fma_f64 v[168:169], v[126:127], s[14:15], -v[166:167]
	s_delay_alu instid0(VALU_DEP_1) | instskip(SKIP_1) | instid1(VALU_DEP_1)
	v_add_f64 v[160:161], v[168:169], v[160:161]
	v_mul_f64 v[168:169], v[130:131], s[0:1]
	v_fma_f64 v[170:171], v[132:133], s[10:11], v[168:169]
	s_delay_alu instid0(VALU_DEP_1) | instskip(SKIP_1) | instid1(VALU_DEP_1)
	v_add_f64 v[64:65], v[170:171], v[64:65]
	v_mul_f64 v[170:171], v[136:137], s[10:11]
	v_fma_f64 v[172:173], v[138:139], s[0:1], -v[170:171]
	s_delay_alu instid0(VALU_DEP_1) | instskip(SKIP_1) | instid1(VALU_DEP_1)
	v_add_f64 v[160:161], v[172:173], v[160:161]
	v_mul_f64 v[172:173], v[144:145], s[36:37]
	v_fma_f64 v[174:175], v[146:147], s[28:29], -v[172:173]
	s_delay_alu instid0(VALU_DEP_1) | instskip(SKIP_1) | instid1(VALU_DEP_1)
	v_add_f64 v[160:161], v[174:175], v[160:161]
	v_mul_f64 v[174:175], v[150:151], s[28:29]
	v_fma_f64 v[176:177], v[152:153], s[36:37], v[174:175]
	s_delay_alu instid0(VALU_DEP_1) | instskip(NEXT) | instid1(VALU_DEP_4)
	v_add_f64 v[64:65], v[176:177], v[64:65]
	v_mul_f64 v[176:177], v[160:161], v[62:63]
	s_delay_alu instid0(VALU_DEP_2) | instskip(NEXT) | instid1(VALU_DEP_2)
	v_mul_f64 v[62:63], v[64:65], v[62:63]
	v_fma_f64 v[64:65], v[64:65], v[68:69], v[176:177]
	v_mul_f64 v[176:177], v[84:85], s[18:19]
	v_mul_f64 v[84:85], v[84:85], s[0:1]
	s_delay_alu instid0(VALU_DEP_4) | instskip(SKIP_1) | instid1(VALU_DEP_4)
	v_fma_f64 v[62:63], v[160:161], v[68:69], -v[62:63]
	v_mul_f64 v[160:161], v[80:81], s[28:29]
	v_fma_f64 v[178:179], v[88:89], s[30:31], v[176:177]
	v_mul_f64 v[80:81], v[80:81], s[38:39]
	s_delay_alu instid0(VALU_DEP_3) | instskip(NEXT) | instid1(VALU_DEP_1)
	v_fma_f64 v[68:69], v[86:87], s[36:37], v[160:161]
	v_add_f64 v[68:69], v[15:16], v[68:69]
	s_delay_alu instid0(VALU_DEP_1) | instskip(SKIP_2) | instid1(VALU_DEP_2)
	v_add_f64 v[68:69], v[178:179], v[68:69]
	v_mul_f64 v[178:179], v[92:93], s[36:37]
	v_mul_f64 v[92:93], v[92:93], s[40:41]
	v_fma_f64 v[180:181], v[94:95], s[28:29], -v[178:179]
	s_delay_alu instid0(VALU_DEP_1) | instskip(NEXT) | instid1(VALU_DEP_1)
	v_add_f64 v[180:181], v[13:14], v[180:181]
	v_add_f64 v[180:181], v[184:185], v[180:181]
	v_mul_f64 v[184:185], v[118:119], s[0:1]
	v_mul_f64 v[118:119], v[118:119], s[28:29]
	s_delay_alu instid0(VALU_DEP_2) | instskip(NEXT) | instid1(VALU_DEP_1)
	v_fma_f64 v[186:187], v[120:121], s[10:11], v[184:185]
	v_add_f64 v[68:69], v[186:187], v[68:69]
	v_mul_f64 v[186:187], v[124:125], s[10:11]
	v_mul_f64 v[124:125], v[124:125], s[36:37]
	s_delay_alu instid0(VALU_DEP_2) | instskip(NEXT) | instid1(VALU_DEP_1)
	v_fma_f64 v[188:189], v[126:127], s[0:1], -v[186:187]
	v_add_f64 v[180:181], v[188:189], v[180:181]
	v_mul_f64 v[188:189], v[130:131], s[38:39]
	v_mul_f64 v[130:131], v[130:131], s[14:15]
	s_delay_alu instid0(VALU_DEP_2) | instskip(NEXT) | instid1(VALU_DEP_1)
	v_fma_f64 v[190:191], v[132:133], s[40:41], v[188:189]
	v_add_f64 v[68:69], v[190:191], v[68:69]
	v_mul_f64 v[190:191], v[136:137], s[40:41]
	v_mul_f64 v[136:137], v[136:137], s[16:17]
	s_delay_alu instid0(VALU_DEP_2) | instskip(NEXT) | instid1(VALU_DEP_1)
	v_fma_f64 v[192:193], v[138:139], s[38:39], -v[190:191]
	v_add_f64 v[180:181], v[192:193], v[180:181]
	v_mul_f64 v[192:193], v[144:145], s[16:17]
	v_mul_f64 v[144:145], v[144:145], s[24:25]
	s_delay_alu instid0(VALU_DEP_2) | instskip(NEXT) | instid1(VALU_DEP_1)
	v_fma_f64 v[194:195], v[146:147], s[14:15], -v[192:193]
	v_add_f64 v[180:181], v[194:195], v[180:181]
	v_mul_f64 v[194:195], v[150:151], s[14:15]
	v_mul_f64 v[150:151], v[150:151], s[18:19]
	s_delay_alu instid0(VALU_DEP_2) | instskip(NEXT) | instid1(VALU_DEP_1)
	v_fma_f64 v[196:197], v[152:153], s[16:17], v[194:195]
	v_add_f64 v[68:69], v[196:197], v[68:69]
	v_mul_f64 v[196:197], v[180:181], v[66:67]
	s_delay_alu instid0(VALU_DEP_2) | instskip(NEXT) | instid1(VALU_DEP_2)
	v_mul_f64 v[66:67], v[68:69], v[66:67]
	v_fma_f64 v[68:69], v[68:69], v[72:73], v[196:197]
	v_fma_f64 v[196:197], v[114:115], s[0:1], -v[100:101]
	s_delay_alu instid0(VALU_DEP_3) | instskip(SKIP_2) | instid1(VALU_DEP_2)
	v_fma_f64 v[66:67], v[180:181], v[72:73], -v[66:67]
	v_fma_f64 v[72:73], v[86:87], s[40:41], v[80:81]
	v_fma_f64 v[180:181], v[88:89], s[12:13], v[84:85]
	v_add_f64 v[72:73], v[15:16], v[72:73]
	s_delay_alu instid0(VALU_DEP_1) | instskip(SKIP_1) | instid1(VALU_DEP_1)
	v_add_f64 v[72:73], v[180:181], v[72:73]
	v_fma_f64 v[180:181], v[94:95], s[38:39], -v[92:93]
	v_add_f64 v[180:181], v[13:14], v[180:181]
	s_delay_alu instid0(VALU_DEP_1) | instskip(SKIP_1) | instid1(VALU_DEP_1)
	v_add_f64 v[180:181], v[196:197], v[180:181]
	v_fma_f64 v[196:197], v[120:121], s[36:37], v[118:119]
	v_add_f64 v[72:73], v[196:197], v[72:73]
	v_fma_f64 v[196:197], v[126:127], s[28:29], -v[124:125]
	s_delay_alu instid0(VALU_DEP_1) | instskip(SKIP_1) | instid1(VALU_DEP_1)
	v_add_f64 v[180:181], v[196:197], v[180:181]
	v_fma_f64 v[196:197], v[132:133], s[16:17], v[130:131]
	v_add_f64 v[72:73], v[196:197], v[72:73]
	v_fma_f64 v[196:197], v[138:139], s[14:15], -v[136:137]
	s_delay_alu instid0(VALU_DEP_1) | instskip(SKIP_1) | instid1(VALU_DEP_1)
	v_add_f64 v[180:181], v[196:197], v[180:181]
	v_fma_f64 v[196:197], v[146:147], s[18:19], -v[144:145]
	v_add_f64 v[180:181], v[196:197], v[180:181]
	v_fma_f64 v[196:197], v[152:153], s[24:25], v[150:151]
	s_delay_alu instid0(VALU_DEP_1) | instskip(NEXT) | instid1(VALU_DEP_3)
	v_add_f64 v[72:73], v[196:197], v[72:73]
	v_mul_f64 v[196:197], v[180:181], v[70:71]
	s_delay_alu instid0(VALU_DEP_2) | instskip(NEXT) | instid1(VALU_DEP_2)
	v_mul_f64 v[70:71], v[72:73], v[70:71]
	v_fma_f64 v[72:73], v[72:73], v[76:77], v[196:197]
	s_delay_alu instid0(VALU_DEP_2) | instskip(SKIP_3) | instid1(VALU_DEP_3)
	v_fma_f64 v[70:71], v[180:181], v[76:77], -v[70:71]
	v_fma_f64 v[76:77], v[86:87], s[42:43], v[80:81]
	v_fma_f64 v[80:81], v[88:89], s[10:11], v[84:85]
	;; [unrolled: 1-line block ×3, first 2 shown]
	v_add_f64 v[76:77], v[15:16], v[76:77]
	s_delay_alu instid0(VALU_DEP_1) | instskip(SKIP_1) | instid1(VALU_DEP_1)
	v_add_f64 v[76:77], v[80:81], v[76:77]
	v_fma_f64 v[80:81], v[94:95], s[38:39], v[92:93]
	v_add_f64 v[80:81], v[13:14], v[80:81]
	s_delay_alu instid0(VALU_DEP_1) | instskip(SKIP_1) | instid1(VALU_DEP_1)
	v_add_f64 v[80:81], v[84:85], v[80:81]
	v_fma_f64 v[84:85], v[120:121], s[34:35], v[118:119]
	v_add_f64 v[76:77], v[84:85], v[76:77]
	v_fma_f64 v[84:85], v[126:127], s[28:29], v[124:125]
	s_delay_alu instid0(VALU_DEP_1) | instskip(SKIP_1) | instid1(VALU_DEP_1)
	v_add_f64 v[80:81], v[84:85], v[80:81]
	v_fma_f64 v[84:85], v[132:133], s[26:27], v[130:131]
	v_add_f64 v[76:77], v[84:85], v[76:77]
	v_fma_f64 v[84:85], v[138:139], s[14:15], v[136:137]
	;; [unrolled: 5-line block ×3, first 2 shown]
	s_delay_alu instid0(VALU_DEP_1) | instskip(NEXT) | instid1(VALU_DEP_3)
	v_add_f64 v[76:77], v[84:85], v[76:77]
	v_mul_f64 v[84:85], v[80:81], v[74:75]
	s_delay_alu instid0(VALU_DEP_2) | instskip(NEXT) | instid1(VALU_DEP_2)
	v_mul_f64 v[74:75], v[76:77], v[74:75]
	v_fma_f64 v[76:77], v[76:77], v[78:79], v[84:85]
	v_fma_f64 v[84:85], v[114:115], s[18:19], v[182:183]
	s_delay_alu instid0(VALU_DEP_3) | instskip(SKIP_4) | instid1(VALU_DEP_4)
	v_fma_f64 v[74:75], v[80:81], v[78:79], -v[74:75]
	v_fma_f64 v[78:79], v[86:87], s[34:35], v[160:161]
	v_fma_f64 v[80:81], v[88:89], s[24:25], v[176:177]
	;; [unrolled: 1-line block ×4, first 2 shown]
	v_add_f64 v[78:79], v[15:16], v[78:79]
	s_delay_alu instid0(VALU_DEP_3) | instskip(NEXT) | instid1(VALU_DEP_2)
	v_add_f64 v[86:87], v[15:16], v[86:87]
	v_add_f64 v[78:79], v[80:81], v[78:79]
	v_fma_f64 v[80:81], v[94:95], s[28:29], v[178:179]
	s_delay_alu instid0(VALU_DEP_1) | instskip(NEXT) | instid1(VALU_DEP_1)
	v_add_f64 v[80:81], v[13:14], v[80:81]
	v_add_f64 v[80:81], v[84:85], v[80:81]
	v_fma_f64 v[84:85], v[120:121], s[12:13], v[184:185]
	s_delay_alu instid0(VALU_DEP_1) | instskip(SKIP_1) | instid1(VALU_DEP_1)
	v_add_f64 v[78:79], v[84:85], v[78:79]
	v_fma_f64 v[84:85], v[126:127], s[0:1], v[186:187]
	v_add_f64 v[80:81], v[84:85], v[80:81]
	v_fma_f64 v[84:85], v[132:133], s[42:43], v[188:189]
	s_delay_alu instid0(VALU_DEP_1) | instskip(SKIP_1) | instid1(VALU_DEP_1)
	v_add_f64 v[78:79], v[84:85], v[78:79]
	v_fma_f64 v[84:85], v[138:139], s[38:39], v[190:191]
	;; [unrolled: 5-line block ×3, first 2 shown]
	v_add_f64 v[78:79], v[80:81], v[78:79]
	s_delay_alu instid0(VALU_DEP_3) | instskip(NEXT) | instid1(VALU_DEP_2)
	v_mul_f64 v[80:81], v[84:85], v[110:111]
	v_mul_f64 v[92:93], v[78:79], v[110:111]
	s_delay_alu instid0(VALU_DEP_2) | instskip(NEXT) | instid1(VALU_DEP_2)
	v_fma_f64 v[80:81], v[78:79], v[112:113], v[80:81]
	v_fma_f64 v[78:79], v[84:85], v[112:113], -v[92:93]
	v_fma_f64 v[84:85], v[94:95], s[18:19], v[158:159]
	v_fma_f64 v[92:93], v[114:115], s[38:39], v[162:163]
	s_delay_alu instid0(VALU_DEP_2) | instskip(NEXT) | instid1(VALU_DEP_1)
	v_add_f64 v[84:85], v[13:14], v[84:85]
	v_add_f64 v[84:85], v[92:93], v[84:85]
	v_fma_f64 v[92:93], v[88:89], s[40:41], v[156:157]
	v_fma_f64 v[88:89], v[88:89], s[34:35], v[96:97]
	;; [unrolled: 1-line block ×3, first 2 shown]
	s_delay_alu instid0(VALU_DEP_3) | instskip(SKIP_1) | instid1(VALU_DEP_4)
	v_add_f64 v[82:83], v[92:93], v[82:83]
	v_fma_f64 v[92:93], v[126:127], s[14:15], v[166:167]
	v_add_f64 v[86:87], v[88:89], v[86:87]
	v_fma_f64 v[88:89], v[132:133], s[24:25], v[134:135]
	s_delay_alu instid0(VALU_DEP_3) | instskip(SKIP_1) | instid1(VALU_DEP_4)
	v_add_f64 v[84:85], v[92:93], v[84:85]
	v_fma_f64 v[92:93], v[120:121], s[26:27], v[164:165]
	v_add_f64 v[86:87], v[90:91], v[86:87]
	v_fma_f64 v[90:91], v[152:153], s[10:11], v[154:155]
	s_delay_alu instid0(VALU_DEP_3) | instskip(SKIP_1) | instid1(VALU_DEP_4)
	v_add_f64 v[82:83], v[92:93], v[82:83]
	v_fma_f64 v[92:93], v[138:139], s[0:1], v[170:171]
	v_add_f64 v[86:87], v[88:89], v[86:87]
	s_delay_alu instid0(VALU_DEP_2) | instskip(SKIP_1) | instid1(VALU_DEP_3)
	v_add_f64 v[84:85], v[92:93], v[84:85]
	v_fma_f64 v[92:93], v[132:133], s[12:13], v[168:169]
	v_add_f64 v[86:87], v[90:91], v[86:87]
	s_delay_alu instid0(VALU_DEP_2) | instskip(SKIP_1) | instid1(VALU_DEP_3)
	v_add_f64 v[82:83], v[92:93], v[82:83]
	v_fma_f64 v[92:93], v[146:147], s[28:29], v[172:173]
	v_mul_f64 v[90:91], v[86:87], v[104:105]
	s_delay_alu instid0(VALU_DEP_2) | instskip(SKIP_1) | instid1(VALU_DEP_1)
	v_add_f64 v[92:93], v[92:93], v[84:85]
	v_fma_f64 v[84:85], v[152:153], s[34:35], v[174:175]
	v_add_f64 v[82:83], v[84:85], v[82:83]
	s_delay_alu instid0(VALU_DEP_3) | instskip(NEXT) | instid1(VALU_DEP_2)
	v_mul_f64 v[84:85], v[92:93], v[106:107]
	v_mul_f64 v[100:101], v[82:83], v[106:107]
	s_delay_alu instid0(VALU_DEP_2) | instskip(NEXT) | instid1(VALU_DEP_2)
	v_fma_f64 v[84:85], v[82:83], v[108:109], v[84:85]
	v_fma_f64 v[82:83], v[92:93], v[108:109], -v[100:101]
	v_fma_f64 v[92:93], v[94:95], s[14:15], v[98:99]
	v_fma_f64 v[94:95], v[114:115], s[28:29], v[116:117]
	s_delay_alu instid0(VALU_DEP_2) | instskip(SKIP_1) | instid1(VALU_DEP_2)
	v_add_f64 v[92:93], v[13:14], v[92:93]
	v_add_f64 v[13:14], v[15:16], v[50:51]
	;; [unrolled: 1-line block ×3, first 2 shown]
	s_delay_alu instid0(VALU_DEP_2) | instskip(SKIP_1) | instid1(VALU_DEP_3)
	v_add_f64 v[13:14], v[13:14], v[43:44]
	v_fma_f64 v[94:95], v[138:139], s[18:19], v[140:141]
	v_add_f64 v[92:93], v[96:97], v[92:93]
	s_delay_alu instid0(VALU_DEP_3) | instskip(SKIP_3) | instid1(VALU_DEP_3)
	v_add_f64 v[13:14], v[13:14], v[33:34]
	v_fma_f64 v[96:97], v[146:147], s[0:1], v[148:149]
	s_mul_i32 s1, s47, s22
	s_mul_i32 s0, s46, s22
	v_add_f64 v[92:93], v[94:95], v[92:93]
	s_delay_alu instid0(VALU_DEP_3) | instskip(NEXT) | instid1(VALU_DEP_2)
	v_add_f64 v[13:14], v[13:14], v[25:26]
	v_add_f64 v[92:93], v[96:97], v[92:93]
	s_delay_alu instid0(VALU_DEP_2) | instskip(NEXT) | instid1(VALU_DEP_2)
	v_add_f64 v[13:14], v[13:14], v[17:18]
	v_mul_f64 v[88:89], v[92:93], v[104:105]
	s_delay_alu instid0(VALU_DEP_2) | instskip(NEXT) | instid1(VALU_DEP_2)
	v_add_f64 v[13:14], v[13:14], v[21:22]
	v_fma_f64 v[88:89], v[86:87], v[102:103], v[88:89]
	s_delay_alu instid0(VALU_DEP_2) | instskip(SKIP_1) | instid1(VALU_DEP_2)
	v_add_f64 v[13:14], v[13:14], v[29:30]
	v_fma_f64 v[86:87], v[92:93], v[102:103], -v[90:91]
	v_add_f64 v[13:14], v[13:14], v[37:38]
	s_delay_alu instid0(VALU_DEP_1) | instskip(NEXT) | instid1(VALU_DEP_1)
	v_add_f64 v[13:14], v[13:14], v[41:42]
	v_add_f64 v[1:2], v[13:14], v[1:2]
	s_delay_alu instid0(VALU_DEP_1) | instskip(SKIP_1) | instid1(VALU_DEP_2)
	v_mul_f64 v[11:12], v[1:2], v[11:12]
	v_fma_f64 v[3:4], v[1:2], v[142:143], v[3:4]
	v_fma_f64 v[1:2], v[9:10], v[142:143], -v[11:12]
	v_mad_u64_u32 v[9:10], null, s6, v52, 0
	s_mul_hi_u32 s6, s46, s22
	s_delay_alu instid0(SALU_CYCLE_1) | instskip(NEXT) | instid1(SALU_CYCLE_1)
	s_add_i32 s1, s6, s1
	s_lshl_b64 s[0:1], s[0:1], 4
	s_delay_alu instid0(VALU_DEP_1) | instskip(SKIP_3) | instid1(SALU_CYCLE_1)
	v_mad_u64_u32 v[11:12], null, s7, v52, v[10:11]
	s_add_u32 s2, s2, s0
	s_addc_u32 s3, s3, s1
	s_lshl_b64 s[0:1], s[20:21], 4
	s_add_u32 s0, s2, s0
	s_addc_u32 s1, s3, s1
	s_delay_alu instid0(VALU_DEP_1) | instskip(NEXT) | instid1(VALU_DEP_1)
	v_dual_mov_b32 v10, v11 :: v_dual_and_b32 v11, 0xffff, v0
	v_lshlrev_b64 v[9:10], 4, v[9:10]
	s_delay_alu instid0(VALU_DEP_2) | instskip(NEXT) | instid1(VALU_DEP_1)
	v_mul_u32_u24_e32 v11, 0x21e, v11
	v_lshrrev_b32_e32 v11, 16, v11
	s_delay_alu instid0(VALU_DEP_1) | instskip(NEXT) | instid1(VALU_DEP_1)
	v_mul_lo_u16 v11, 0x79, v11
	v_sub_nc_u16 v11, v0, v11
	s_delay_alu instid0(VALU_DEP_1) | instskip(NEXT) | instid1(VALU_DEP_1)
	v_and_b32_e32 v11, 0xffff, v11
	v_sub_nc_u32_e32 v0, v0, v11
	s_delay_alu instid0(VALU_DEP_1) | instskip(NEXT) | instid1(VALU_DEP_1)
	v_add_nc_u32_e32 v14, v0, v53
	v_mad_u64_u32 v[11:12], null, s4, v14, 0
	s_delay_alu instid0(VALU_DEP_1) | instskip(NEXT) | instid1(VALU_DEP_1)
	v_mov_b32_e32 v0, v12
	v_mad_u64_u32 v[12:13], null, s5, v14, v[0:1]
	v_add_co_u32 v13, vcc_lo, s0, v9
	v_add_co_ci_u32_e32 v15, vcc_lo, s1, v10, vcc_lo
	s_delay_alu instid0(VALU_DEP_3) | instskip(SKIP_1) | instid1(VALU_DEP_2)
	v_lshlrev_b64 v[9:10], 4, v[11:12]
	v_add_nc_u32_e32 v12, 0x6e, v14
	v_add_co_u32 v9, vcc_lo, v13, v9
	s_delay_alu instid0(VALU_DEP_3) | instskip(SKIP_2) | instid1(VALU_DEP_1)
	v_add_co_ci_u32_e32 v10, vcc_lo, v15, v10, vcc_lo
	global_store_b128 v[9:10], v[1:4], off
	v_add_nc_u32_e32 v4, 11, v14
	v_mad_u64_u32 v[0:1], null, s4, v4, 0
	s_delay_alu instid0(VALU_DEP_1) | instskip(NEXT) | instid1(VALU_DEP_1)
	v_mad_u64_u32 v[2:3], null, s5, v4, v[1:2]
	v_dual_mov_b32 v1, v2 :: v_dual_add_nc_u32 v4, 22, v14
	s_delay_alu instid0(VALU_DEP_1) | instskip(NEXT) | instid1(VALU_DEP_1)
	v_lshlrev_b64 v[0:1], 4, v[0:1]
	v_add_co_u32 v0, vcc_lo, v13, v0
	s_delay_alu instid0(VALU_DEP_2) | instskip(SKIP_2) | instid1(VALU_DEP_1)
	v_add_co_ci_u32_e32 v1, vcc_lo, v15, v1, vcc_lo
	global_store_b128 v[0:1], v[54:57], off
	v_mad_u64_u32 v[0:1], null, s4, v4, 0
	v_mad_u64_u32 v[2:3], null, s5, v4, v[1:2]
	s_delay_alu instid0(VALU_DEP_1) | instskip(NEXT) | instid1(VALU_DEP_1)
	v_dual_mov_b32 v1, v2 :: v_dual_add_nc_u32 v4, 33, v14
	v_lshlrev_b64 v[0:1], 4, v[0:1]
	s_delay_alu instid0(VALU_DEP_1) | instskip(NEXT) | instid1(VALU_DEP_2)
	v_add_co_u32 v0, vcc_lo, v13, v0
	v_add_co_ci_u32_e32 v1, vcc_lo, v15, v1, vcc_lo
	global_store_b128 v[0:1], v[58:61], off
	v_mad_u64_u32 v[0:1], null, s4, v4, 0
	s_delay_alu instid0(VALU_DEP_1) | instskip(NEXT) | instid1(VALU_DEP_1)
	v_mad_u64_u32 v[2:3], null, s5, v4, v[1:2]
	v_dual_mov_b32 v1, v2 :: v_dual_add_nc_u32 v4, 44, v14
	s_delay_alu instid0(VALU_DEP_1) | instskip(NEXT) | instid1(VALU_DEP_1)
	v_lshlrev_b64 v[0:1], 4, v[0:1]
	v_add_co_u32 v0, vcc_lo, v13, v0
	s_delay_alu instid0(VALU_DEP_2) | instskip(SKIP_2) | instid1(VALU_DEP_1)
	v_add_co_ci_u32_e32 v1, vcc_lo, v15, v1, vcc_lo
	global_store_b128 v[0:1], v[62:65], off
	v_mad_u64_u32 v[0:1], null, s4, v4, 0
	v_mad_u64_u32 v[2:3], null, s5, v4, v[1:2]
	s_delay_alu instid0(VALU_DEP_1) | instskip(NEXT) | instid1(VALU_DEP_1)
	v_dual_mov_b32 v1, v2 :: v_dual_add_nc_u32 v4, 55, v14
	v_lshlrev_b64 v[0:1], 4, v[0:1]
	s_delay_alu instid0(VALU_DEP_1) | instskip(NEXT) | instid1(VALU_DEP_2)
	v_add_co_u32 v0, vcc_lo, v13, v0
	v_add_co_ci_u32_e32 v1, vcc_lo, v15, v1, vcc_lo
	global_store_b128 v[0:1], v[66:69], off
	v_mad_u64_u32 v[0:1], null, s4, v4, 0
	s_delay_alu instid0(VALU_DEP_1) | instskip(NEXT) | instid1(VALU_DEP_1)
	v_mad_u64_u32 v[2:3], null, s5, v4, v[1:2]
	v_dual_mov_b32 v1, v2 :: v_dual_add_nc_u32 v4, 0x42, v14
	s_delay_alu instid0(VALU_DEP_1) | instskip(NEXT) | instid1(VALU_DEP_1)
	v_lshlrev_b64 v[0:1], 4, v[0:1]
	v_add_co_u32 v0, vcc_lo, v13, v0
	s_delay_alu instid0(VALU_DEP_2) | instskip(SKIP_2) | instid1(VALU_DEP_1)
	v_add_co_ci_u32_e32 v1, vcc_lo, v15, v1, vcc_lo
	global_store_b128 v[0:1], v[70:73], off
	v_mad_u64_u32 v[0:1], null, s4, v4, 0
	v_mad_u64_u32 v[2:3], null, s5, v4, v[1:2]
	s_delay_alu instid0(VALU_DEP_1) | instskip(NEXT) | instid1(VALU_DEP_1)
	v_dual_mov_b32 v1, v2 :: v_dual_add_nc_u32 v4, 0x4d, v14
	v_lshlrev_b64 v[0:1], 4, v[0:1]
	s_delay_alu instid0(VALU_DEP_1) | instskip(NEXT) | instid1(VALU_DEP_2)
	v_add_co_u32 v0, vcc_lo, v13, v0
	v_add_co_ci_u32_e32 v1, vcc_lo, v15, v1, vcc_lo
	global_store_b128 v[0:1], v[74:77], off
	v_mad_u64_u32 v[0:1], null, s4, v4, 0
	s_delay_alu instid0(VALU_DEP_1) | instskip(NEXT) | instid1(VALU_DEP_1)
	v_mad_u64_u32 v[2:3], null, s5, v4, v[1:2]
	v_dual_mov_b32 v1, v2 :: v_dual_add_nc_u32 v4, 0x58, v14
	s_delay_alu instid0(VALU_DEP_1) | instskip(NEXT) | instid1(VALU_DEP_1)
	v_lshlrev_b64 v[0:1], 4, v[0:1]
	v_add_co_u32 v0, vcc_lo, v13, v0
	s_delay_alu instid0(VALU_DEP_2) | instskip(SKIP_2) | instid1(VALU_DEP_1)
	v_add_co_ci_u32_e32 v1, vcc_lo, v15, v1, vcc_lo
	global_store_b128 v[0:1], v[78:81], off
	v_mad_u64_u32 v[0:1], null, s4, v4, 0
	v_mad_u64_u32 v[2:3], null, s5, v4, v[1:2]
	s_delay_alu instid0(VALU_DEP_1) | instskip(NEXT) | instid1(VALU_DEP_1)
	v_dual_mov_b32 v1, v2 :: v_dual_add_nc_u32 v4, 0x63, v14
	v_mad_u64_u32 v[2:3], null, s4, v4, 0
	s_delay_alu instid0(VALU_DEP_2) | instskip(NEXT) | instid1(VALU_DEP_2)
	v_lshlrev_b64 v[0:1], 4, v[0:1]
	v_mad_u64_u32 v[9:10], null, s5, v4, v[3:4]
	s_delay_alu instid0(VALU_DEP_2) | instskip(NEXT) | instid1(VALU_DEP_3)
	v_add_co_u32 v0, vcc_lo, v13, v0
	v_add_co_ci_u32_e32 v1, vcc_lo, v15, v1, vcc_lo
	s_delay_alu instid0(VALU_DEP_3) | instskip(SKIP_1) | instid1(VALU_DEP_2)
	v_mov_b32_e32 v3, v9
	v_mad_u64_u32 v[9:10], null, s4, v12, 0
	v_lshlrev_b64 v[2:3], 4, v[2:3]
	s_delay_alu instid0(VALU_DEP_2) | instskip(NEXT) | instid1(VALU_DEP_2)
	v_mov_b32_e32 v4, v10
	v_add_co_u32 v2, vcc_lo, v13, v2
	s_delay_alu instid0(VALU_DEP_3) | instskip(NEXT) | instid1(VALU_DEP_3)
	v_add_co_ci_u32_e32 v3, vcc_lo, v15, v3, vcc_lo
	v_mad_u64_u32 v[10:11], null, s5, v12, v[4:5]
	s_delay_alu instid0(VALU_DEP_1) | instskip(NEXT) | instid1(VALU_DEP_1)
	v_lshlrev_b64 v[9:10], 4, v[9:10]
	v_add_co_u32 v9, vcc_lo, v13, v9
	s_delay_alu instid0(VALU_DEP_2)
	v_add_co_ci_u32_e32 v10, vcc_lo, v15, v10, vcc_lo
	s_clause 0x2
	global_store_b128 v[0:1], v[82:85], off
	global_store_b128 v[2:3], v[86:89], off
	;; [unrolled: 1-line block ×3, first 2 shown]
.LBB0_36:
	s_nop 0
	s_sendmsg sendmsg(MSG_DEALLOC_VGPRS)
	s_endpgm
	.section	.rodata,"a",@progbits
	.p2align	6, 0x0
	.amdhsa_kernel fft_rtc_fwd_len121_factors_11_11_wgs_121_tpt_11_dp_op_CI_CI_sbcc_twdbase8_3step_dirReg_intrinsicRead
		.amdhsa_group_segment_fixed_size 0
		.amdhsa_private_segment_fixed_size 0
		.amdhsa_kernarg_size 112
		.amdhsa_user_sgpr_count 15
		.amdhsa_user_sgpr_dispatch_ptr 0
		.amdhsa_user_sgpr_queue_ptr 0
		.amdhsa_user_sgpr_kernarg_segment_ptr 1
		.amdhsa_user_sgpr_dispatch_id 0
		.amdhsa_user_sgpr_private_segment_size 0
		.amdhsa_wavefront_size32 1
		.amdhsa_uses_dynamic_stack 0
		.amdhsa_enable_private_segment 0
		.amdhsa_system_sgpr_workgroup_id_x 1
		.amdhsa_system_sgpr_workgroup_id_y 0
		.amdhsa_system_sgpr_workgroup_id_z 0
		.amdhsa_system_sgpr_workgroup_info 0
		.amdhsa_system_vgpr_workitem_id 0
		.amdhsa_next_free_vgpr 201
		.amdhsa_next_free_sgpr 58
		.amdhsa_reserve_vcc 1
		.amdhsa_float_round_mode_32 0
		.amdhsa_float_round_mode_16_64 0
		.amdhsa_float_denorm_mode_32 3
		.amdhsa_float_denorm_mode_16_64 3
		.amdhsa_dx10_clamp 1
		.amdhsa_ieee_mode 1
		.amdhsa_fp16_overflow 0
		.amdhsa_workgroup_processor_mode 1
		.amdhsa_memory_ordered 1
		.amdhsa_forward_progress 0
		.amdhsa_shared_vgpr_count 0
		.amdhsa_exception_fp_ieee_invalid_op 0
		.amdhsa_exception_fp_denorm_src 0
		.amdhsa_exception_fp_ieee_div_zero 0
		.amdhsa_exception_fp_ieee_overflow 0
		.amdhsa_exception_fp_ieee_underflow 0
		.amdhsa_exception_fp_ieee_inexact 0
		.amdhsa_exception_int_div_zero 0
	.end_amdhsa_kernel
	.text
.Lfunc_end0:
	.size	fft_rtc_fwd_len121_factors_11_11_wgs_121_tpt_11_dp_op_CI_CI_sbcc_twdbase8_3step_dirReg_intrinsicRead, .Lfunc_end0-fft_rtc_fwd_len121_factors_11_11_wgs_121_tpt_11_dp_op_CI_CI_sbcc_twdbase8_3step_dirReg_intrinsicRead
                                        ; -- End function
	.section	.AMDGPU.csdata,"",@progbits
; Kernel info:
; codeLenInByte = 12128
; NumSgprs: 60
; NumVgprs: 201
; ScratchSize: 0
; MemoryBound: 0
; FloatMode: 240
; IeeeMode: 1
; LDSByteSize: 0 bytes/workgroup (compile time only)
; SGPRBlocks: 7
; VGPRBlocks: 25
; NumSGPRsForWavesPerEU: 60
; NumVGPRsForWavesPerEU: 201
; Occupancy: 7
; WaveLimiterHint : 1
; COMPUTE_PGM_RSRC2:SCRATCH_EN: 0
; COMPUTE_PGM_RSRC2:USER_SGPR: 15
; COMPUTE_PGM_RSRC2:TRAP_HANDLER: 0
; COMPUTE_PGM_RSRC2:TGID_X_EN: 1
; COMPUTE_PGM_RSRC2:TGID_Y_EN: 0
; COMPUTE_PGM_RSRC2:TGID_Z_EN: 0
; COMPUTE_PGM_RSRC2:TIDIG_COMP_CNT: 0
	.text
	.p2alignl 7, 3214868480
	.fill 96, 4, 3214868480
	.type	__hip_cuid_4473deff72a8bd11,@object ; @__hip_cuid_4473deff72a8bd11
	.section	.bss,"aw",@nobits
	.globl	__hip_cuid_4473deff72a8bd11
__hip_cuid_4473deff72a8bd11:
	.byte	0                               ; 0x0
	.size	__hip_cuid_4473deff72a8bd11, 1

	.ident	"AMD clang version 19.0.0git (https://github.com/RadeonOpenCompute/llvm-project roc-6.4.0 25133 c7fe45cf4b819c5991fe208aaa96edf142730f1d)"
	.section	".note.GNU-stack","",@progbits
	.addrsig
	.addrsig_sym __hip_cuid_4473deff72a8bd11
	.amdgpu_metadata
---
amdhsa.kernels:
  - .args:
      - .actual_access:  read_only
        .address_space:  global
        .offset:         0
        .size:           8
        .value_kind:     global_buffer
      - .address_space:  global
        .offset:         8
        .size:           8
        .value_kind:     global_buffer
      - .offset:         16
        .size:           8
        .value_kind:     by_value
      - .actual_access:  read_only
        .address_space:  global
        .offset:         24
        .size:           8
        .value_kind:     global_buffer
      - .actual_access:  read_only
        .address_space:  global
        .offset:         32
        .size:           8
        .value_kind:     global_buffer
      - .actual_access:  read_only
        .address_space:  global
        .offset:         40
        .size:           8
        .value_kind:     global_buffer
      - .offset:         48
        .size:           8
        .value_kind:     by_value
      - .actual_access:  read_only
        .address_space:  global
        .offset:         56
        .size:           8
        .value_kind:     global_buffer
      - .actual_access:  read_only
        .address_space:  global
        .offset:         64
        .size:           8
        .value_kind:     global_buffer
      - .offset:         72
        .size:           4
        .value_kind:     by_value
      - .actual_access:  read_only
        .address_space:  global
        .offset:         80
        .size:           8
        .value_kind:     global_buffer
      - .actual_access:  read_only
        .address_space:  global
        .offset:         88
        .size:           8
        .value_kind:     global_buffer
      - .actual_access:  read_only
        .address_space:  global
        .offset:         96
        .size:           8
        .value_kind:     global_buffer
      - .actual_access:  write_only
        .address_space:  global
        .offset:         104
        .size:           8
        .value_kind:     global_buffer
    .group_segment_fixed_size: 0
    .kernarg_segment_align: 8
    .kernarg_segment_size: 112
    .language:       OpenCL C
    .language_version:
      - 2
      - 0
    .max_flat_workgroup_size: 121
    .name:           fft_rtc_fwd_len121_factors_11_11_wgs_121_tpt_11_dp_op_CI_CI_sbcc_twdbase8_3step_dirReg_intrinsicRead
    .private_segment_fixed_size: 0
    .sgpr_count:     60
    .sgpr_spill_count: 0
    .symbol:         fft_rtc_fwd_len121_factors_11_11_wgs_121_tpt_11_dp_op_CI_CI_sbcc_twdbase8_3step_dirReg_intrinsicRead.kd
    .uniform_work_group_size: 1
    .uses_dynamic_stack: false
    .vgpr_count:     201
    .vgpr_spill_count: 0
    .wavefront_size: 32
    .workgroup_processor_mode: 1
amdhsa.target:   amdgcn-amd-amdhsa--gfx1100
amdhsa.version:
  - 1
  - 2
...

	.end_amdgpu_metadata
